;; amdgpu-corpus repo=ROCm/rocFFT kind=compiled arch=gfx1201 opt=O3
	.text
	.amdgcn_target "amdgcn-amd-amdhsa--gfx1201"
	.amdhsa_code_object_version 6
	.protected	fft_rtc_fwd_len1512_factors_2_2_2_3_3_3_7_wgs_63_tpt_63_halfLds_dp_ip_CI_unitstride_sbrr_dirReg ; -- Begin function fft_rtc_fwd_len1512_factors_2_2_2_3_3_3_7_wgs_63_tpt_63_halfLds_dp_ip_CI_unitstride_sbrr_dirReg
	.globl	fft_rtc_fwd_len1512_factors_2_2_2_3_3_3_7_wgs_63_tpt_63_halfLds_dp_ip_CI_unitstride_sbrr_dirReg
	.p2align	8
	.type	fft_rtc_fwd_len1512_factors_2_2_2_3_3_3_7_wgs_63_tpt_63_halfLds_dp_ip_CI_unitstride_sbrr_dirReg,@function
fft_rtc_fwd_len1512_factors_2_2_2_3_3_3_7_wgs_63_tpt_63_halfLds_dp_ip_CI_unitstride_sbrr_dirReg: ; @fft_rtc_fwd_len1512_factors_2_2_2_3_3_3_7_wgs_63_tpt_63_halfLds_dp_ip_CI_unitstride_sbrr_dirReg
; %bb.0:
	s_clause 0x2
	s_load_b128 s[4:7], s[0:1], 0x0
	s_load_b64 s[8:9], s[0:1], 0x50
	s_load_b64 s[10:11], s[0:1], 0x18
	v_mul_u32_u24_e32 v1, 0x411, v0
	v_mov_b32_e32 v3, 0
	s_delay_alu instid0(VALU_DEP_2) | instskip(NEXT) | instid1(VALU_DEP_1)
	v_lshrrev_b32_e32 v1, 16, v1
	v_add_nc_u32_e32 v5, ttmp9, v1
	v_mov_b32_e32 v1, 0
	v_mov_b32_e32 v2, 0
	;; [unrolled: 1-line block ×3, first 2 shown]
	s_wait_kmcnt 0x0
	v_cmp_lt_u64_e64 s2, s[6:7], 2
	s_delay_alu instid0(VALU_DEP_1)
	s_and_b32 vcc_lo, exec_lo, s2
	s_cbranch_vccnz .LBB0_8
; %bb.1:
	s_load_b64 s[2:3], s[0:1], 0x10
	v_mov_b32_e32 v1, 0
	v_mov_b32_e32 v2, 0
	s_add_nc_u64 s[12:13], s[10:11], 8
	s_mov_b64 s[14:15], 1
	s_wait_kmcnt 0x0
	s_add_nc_u64 s[16:17], s[2:3], 8
	s_mov_b32 s3, 0
.LBB0_2:                                ; =>This Inner Loop Header: Depth=1
	s_load_b64 s[18:19], s[16:17], 0x0
                                        ; implicit-def: $vgpr7_vgpr8
	s_mov_b32 s2, exec_lo
	s_wait_kmcnt 0x0
	v_or_b32_e32 v4, s19, v6
	s_delay_alu instid0(VALU_DEP_1)
	v_cmpx_ne_u64_e32 0, v[3:4]
	s_wait_alu 0xfffe
	s_xor_b32 s20, exec_lo, s2
	s_cbranch_execz .LBB0_4
; %bb.3:                                ;   in Loop: Header=BB0_2 Depth=1
	s_cvt_f32_u32 s2, s18
	s_cvt_f32_u32 s21, s19
	s_sub_nc_u64 s[24:25], 0, s[18:19]
	s_wait_alu 0xfffe
	s_delay_alu instid0(SALU_CYCLE_1) | instskip(SKIP_1) | instid1(SALU_CYCLE_2)
	s_fmamk_f32 s2, s21, 0x4f800000, s2
	s_wait_alu 0xfffe
	v_s_rcp_f32 s2, s2
	s_delay_alu instid0(TRANS32_DEP_1) | instskip(SKIP_1) | instid1(SALU_CYCLE_2)
	s_mul_f32 s2, s2, 0x5f7ffffc
	s_wait_alu 0xfffe
	s_mul_f32 s21, s2, 0x2f800000
	s_wait_alu 0xfffe
	s_delay_alu instid0(SALU_CYCLE_2) | instskip(SKIP_1) | instid1(SALU_CYCLE_2)
	s_trunc_f32 s21, s21
	s_wait_alu 0xfffe
	s_fmamk_f32 s2, s21, 0xcf800000, s2
	s_cvt_u32_f32 s23, s21
	s_wait_alu 0xfffe
	s_delay_alu instid0(SALU_CYCLE_1) | instskip(SKIP_1) | instid1(SALU_CYCLE_2)
	s_cvt_u32_f32 s22, s2
	s_wait_alu 0xfffe
	s_mul_u64 s[26:27], s[24:25], s[22:23]
	s_wait_alu 0xfffe
	s_mul_hi_u32 s29, s22, s27
	s_mul_i32 s28, s22, s27
	s_mul_hi_u32 s2, s22, s26
	s_mul_i32 s30, s23, s26
	s_wait_alu 0xfffe
	s_add_nc_u64 s[28:29], s[2:3], s[28:29]
	s_mul_hi_u32 s21, s23, s26
	s_mul_hi_u32 s31, s23, s27
	s_add_co_u32 s2, s28, s30
	s_wait_alu 0xfffe
	s_add_co_ci_u32 s2, s29, s21
	s_mul_i32 s26, s23, s27
	s_add_co_ci_u32 s27, s31, 0
	s_wait_alu 0xfffe
	s_add_nc_u64 s[26:27], s[2:3], s[26:27]
	s_wait_alu 0xfffe
	v_add_co_u32 v4, s2, s22, s26
	s_delay_alu instid0(VALU_DEP_1) | instskip(SKIP_1) | instid1(VALU_DEP_1)
	s_cmp_lg_u32 s2, 0
	s_add_co_ci_u32 s23, s23, s27
	v_readfirstlane_b32 s22, v4
	s_wait_alu 0xfffe
	s_delay_alu instid0(VALU_DEP_1)
	s_mul_u64 s[24:25], s[24:25], s[22:23]
	s_wait_alu 0xfffe
	s_mul_hi_u32 s27, s22, s25
	s_mul_i32 s26, s22, s25
	s_mul_hi_u32 s2, s22, s24
	s_mul_i32 s28, s23, s24
	s_wait_alu 0xfffe
	s_add_nc_u64 s[26:27], s[2:3], s[26:27]
	s_mul_hi_u32 s21, s23, s24
	s_mul_hi_u32 s22, s23, s25
	s_wait_alu 0xfffe
	s_add_co_u32 s2, s26, s28
	s_add_co_ci_u32 s2, s27, s21
	s_mul_i32 s24, s23, s25
	s_add_co_ci_u32 s25, s22, 0
	s_wait_alu 0xfffe
	s_add_nc_u64 s[24:25], s[2:3], s[24:25]
	s_wait_alu 0xfffe
	v_add_co_u32 v4, s2, v4, s24
	s_delay_alu instid0(VALU_DEP_1) | instskip(SKIP_1) | instid1(VALU_DEP_1)
	s_cmp_lg_u32 s2, 0
	s_add_co_ci_u32 s2, s23, s25
	v_mul_hi_u32 v13, v5, v4
	s_wait_alu 0xfffe
	v_mad_co_u64_u32 v[7:8], null, v5, s2, 0
	v_mad_co_u64_u32 v[9:10], null, v6, v4, 0
	;; [unrolled: 1-line block ×3, first 2 shown]
	s_delay_alu instid0(VALU_DEP_3) | instskip(SKIP_1) | instid1(VALU_DEP_4)
	v_add_co_u32 v4, vcc_lo, v13, v7
	s_wait_alu 0xfffd
	v_add_co_ci_u32_e32 v7, vcc_lo, 0, v8, vcc_lo
	s_delay_alu instid0(VALU_DEP_2) | instskip(SKIP_1) | instid1(VALU_DEP_2)
	v_add_co_u32 v4, vcc_lo, v4, v9
	s_wait_alu 0xfffd
	v_add_co_ci_u32_e32 v4, vcc_lo, v7, v10, vcc_lo
	s_wait_alu 0xfffd
	v_add_co_ci_u32_e32 v7, vcc_lo, 0, v12, vcc_lo
	s_delay_alu instid0(VALU_DEP_2) | instskip(SKIP_1) | instid1(VALU_DEP_2)
	v_add_co_u32 v4, vcc_lo, v4, v11
	s_wait_alu 0xfffd
	v_add_co_ci_u32_e32 v9, vcc_lo, 0, v7, vcc_lo
	s_delay_alu instid0(VALU_DEP_2) | instskip(SKIP_1) | instid1(VALU_DEP_3)
	v_mul_lo_u32 v10, s19, v4
	v_mad_co_u64_u32 v[7:8], null, s18, v4, 0
	v_mul_lo_u32 v11, s18, v9
	s_delay_alu instid0(VALU_DEP_2) | instskip(NEXT) | instid1(VALU_DEP_2)
	v_sub_co_u32 v7, vcc_lo, v5, v7
	v_add3_u32 v8, v8, v11, v10
	s_delay_alu instid0(VALU_DEP_1) | instskip(SKIP_1) | instid1(VALU_DEP_1)
	v_sub_nc_u32_e32 v10, v6, v8
	s_wait_alu 0xfffd
	v_subrev_co_ci_u32_e64 v10, s2, s19, v10, vcc_lo
	v_add_co_u32 v11, s2, v4, 2
	s_wait_alu 0xf1ff
	v_add_co_ci_u32_e64 v12, s2, 0, v9, s2
	v_sub_co_u32 v13, s2, v7, s18
	v_sub_co_ci_u32_e32 v8, vcc_lo, v6, v8, vcc_lo
	s_wait_alu 0xf1ff
	v_subrev_co_ci_u32_e64 v10, s2, 0, v10, s2
	s_delay_alu instid0(VALU_DEP_3) | instskip(NEXT) | instid1(VALU_DEP_3)
	v_cmp_le_u32_e32 vcc_lo, s18, v13
	v_cmp_eq_u32_e64 s2, s19, v8
	s_wait_alu 0xfffd
	v_cndmask_b32_e64 v13, 0, -1, vcc_lo
	v_cmp_le_u32_e32 vcc_lo, s19, v10
	s_wait_alu 0xfffd
	v_cndmask_b32_e64 v14, 0, -1, vcc_lo
	v_cmp_le_u32_e32 vcc_lo, s18, v7
	;; [unrolled: 3-line block ×3, first 2 shown]
	s_wait_alu 0xfffd
	v_cndmask_b32_e64 v15, 0, -1, vcc_lo
	v_cmp_eq_u32_e32 vcc_lo, s19, v10
	s_wait_alu 0xf1ff
	s_delay_alu instid0(VALU_DEP_2)
	v_cndmask_b32_e64 v7, v15, v7, s2
	s_wait_alu 0xfffd
	v_cndmask_b32_e32 v10, v14, v13, vcc_lo
	v_add_co_u32 v13, vcc_lo, v4, 1
	s_wait_alu 0xfffd
	v_add_co_ci_u32_e32 v14, vcc_lo, 0, v9, vcc_lo
	s_delay_alu instid0(VALU_DEP_3) | instskip(SKIP_2) | instid1(VALU_DEP_3)
	v_cmp_ne_u32_e32 vcc_lo, 0, v10
	s_wait_alu 0xfffd
	v_cndmask_b32_e32 v10, v13, v11, vcc_lo
	v_cndmask_b32_e32 v8, v14, v12, vcc_lo
	v_cmp_ne_u32_e32 vcc_lo, 0, v7
	s_wait_alu 0xfffd
	s_delay_alu instid0(VALU_DEP_2)
	v_dual_cndmask_b32 v7, v4, v10 :: v_dual_cndmask_b32 v8, v9, v8
.LBB0_4:                                ;   in Loop: Header=BB0_2 Depth=1
	s_wait_alu 0xfffe
	s_and_not1_saveexec_b32 s2, s20
	s_cbranch_execz .LBB0_6
; %bb.5:                                ;   in Loop: Header=BB0_2 Depth=1
	v_cvt_f32_u32_e32 v4, s18
	s_sub_co_i32 s20, 0, s18
	s_delay_alu instid0(VALU_DEP_1) | instskip(NEXT) | instid1(TRANS32_DEP_1)
	v_rcp_iflag_f32_e32 v4, v4
	v_mul_f32_e32 v4, 0x4f7ffffe, v4
	s_delay_alu instid0(VALU_DEP_1) | instskip(SKIP_1) | instid1(VALU_DEP_1)
	v_cvt_u32_f32_e32 v4, v4
	s_wait_alu 0xfffe
	v_mul_lo_u32 v7, s20, v4
	s_delay_alu instid0(VALU_DEP_1) | instskip(NEXT) | instid1(VALU_DEP_1)
	v_mul_hi_u32 v7, v4, v7
	v_add_nc_u32_e32 v4, v4, v7
	s_delay_alu instid0(VALU_DEP_1) | instskip(NEXT) | instid1(VALU_DEP_1)
	v_mul_hi_u32 v4, v5, v4
	v_mul_lo_u32 v7, v4, s18
	v_add_nc_u32_e32 v8, 1, v4
	s_delay_alu instid0(VALU_DEP_2) | instskip(NEXT) | instid1(VALU_DEP_1)
	v_sub_nc_u32_e32 v7, v5, v7
	v_subrev_nc_u32_e32 v9, s18, v7
	v_cmp_le_u32_e32 vcc_lo, s18, v7
	s_wait_alu 0xfffd
	s_delay_alu instid0(VALU_DEP_2) | instskip(NEXT) | instid1(VALU_DEP_1)
	v_dual_cndmask_b32 v7, v7, v9 :: v_dual_cndmask_b32 v4, v4, v8
	v_cmp_le_u32_e32 vcc_lo, s18, v7
	s_delay_alu instid0(VALU_DEP_2) | instskip(SKIP_1) | instid1(VALU_DEP_1)
	v_add_nc_u32_e32 v8, 1, v4
	s_wait_alu 0xfffd
	v_dual_cndmask_b32 v7, v4, v8 :: v_dual_mov_b32 v8, v3
.LBB0_6:                                ;   in Loop: Header=BB0_2 Depth=1
	s_wait_alu 0xfffe
	s_or_b32 exec_lo, exec_lo, s2
	s_load_b64 s[20:21], s[12:13], 0x0
	s_delay_alu instid0(VALU_DEP_1)
	v_mul_lo_u32 v4, v8, s18
	v_mul_lo_u32 v11, v7, s19
	v_mad_co_u64_u32 v[9:10], null, v7, s18, 0
	s_add_nc_u64 s[14:15], s[14:15], 1
	s_add_nc_u64 s[12:13], s[12:13], 8
	s_wait_alu 0xfffe
	v_cmp_ge_u64_e64 s2, s[14:15], s[6:7]
	s_add_nc_u64 s[16:17], s[16:17], 8
	s_delay_alu instid0(VALU_DEP_2) | instskip(NEXT) | instid1(VALU_DEP_3)
	v_add3_u32 v4, v10, v11, v4
	v_sub_co_u32 v5, vcc_lo, v5, v9
	s_wait_alu 0xfffd
	s_delay_alu instid0(VALU_DEP_2) | instskip(SKIP_3) | instid1(VALU_DEP_2)
	v_sub_co_ci_u32_e32 v4, vcc_lo, v6, v4, vcc_lo
	s_and_b32 vcc_lo, exec_lo, s2
	s_wait_kmcnt 0x0
	v_mul_lo_u32 v6, s21, v5
	v_mul_lo_u32 v4, s20, v4
	v_mad_co_u64_u32 v[1:2], null, s20, v5, v[1:2]
	s_delay_alu instid0(VALU_DEP_1)
	v_add3_u32 v2, v6, v2, v4
	s_wait_alu 0xfffe
	s_cbranch_vccnz .LBB0_9
; %bb.7:                                ;   in Loop: Header=BB0_2 Depth=1
	v_dual_mov_b32 v5, v7 :: v_dual_mov_b32 v6, v8
	s_branch .LBB0_2
.LBB0_8:
	v_dual_mov_b32 v8, v6 :: v_dual_mov_b32 v7, v5
.LBB0_9:
	s_lshl_b64 s[2:3], s[6:7], 3
	v_mul_hi_u32 v5, 0x4104105, v0
	s_wait_alu 0xfffe
	s_add_nc_u64 s[2:3], s[10:11], s[2:3]
                                        ; implicit-def: $vgpr94_vgpr95
                                        ; implicit-def: $vgpr78_vgpr79
                                        ; implicit-def: $vgpr90_vgpr91
                                        ; implicit-def: $vgpr62_vgpr63
                                        ; implicit-def: $vgpr86_vgpr87
                                        ; implicit-def: $vgpr54_vgpr55
                                        ; implicit-def: $vgpr82_vgpr83
                                        ; implicit-def: $vgpr46_vgpr47
                                        ; implicit-def: $vgpr66_vgpr67
                                        ; implicit-def: $vgpr38_vgpr39
                                        ; implicit-def: $vgpr58_vgpr59
                                        ; implicit-def: $vgpr26_vgpr27
                                        ; implicit-def: $vgpr50_vgpr51
                                        ; implicit-def: $vgpr22_vgpr23
                                        ; implicit-def: $vgpr42_vgpr43
                                        ; implicit-def: $vgpr18_vgpr19
                                        ; implicit-def: $vgpr34_vgpr35
                                        ; implicit-def: $vgpr14_vgpr15
                                        ; implicit-def: $vgpr30_vgpr31
                                        ; implicit-def: $vgpr10_vgpr11
                                        ; implicit-def: $vgpr74_vgpr75
                                        ; implicit-def: $vgpr70_vgpr71
	s_load_b64 s[2:3], s[2:3], 0x0
	s_load_b64 s[0:1], s[0:1], 0x20
	s_wait_kmcnt 0x0
	v_mul_lo_u32 v3, s2, v8
	v_mul_lo_u32 v4, s3, v7
	v_mad_co_u64_u32 v[1:2], null, s2, v7, v[1:2]
	v_cmp_gt_u64_e32 vcc_lo, s[0:1], v[7:8]
                                        ; implicit-def: $vgpr6_vgpr7
	s_delay_alu instid0(VALU_DEP_2) | instskip(SKIP_1) | instid1(VALU_DEP_2)
	v_add3_u32 v2, v4, v2, v3
	v_mul_u32_u24_e32 v3, 63, v5
	v_lshlrev_b64_e32 v[118:119], 4, v[1:2]
	s_delay_alu instid0(VALU_DEP_2)
	v_sub_nc_u32_e32 v116, v0, v3
                                        ; implicit-def: $vgpr2_vgpr3
	s_and_saveexec_b32 s1, vcc_lo
; %bb.10:
	v_mov_b32_e32 v117, 0
	s_delay_alu instid0(VALU_DEP_3) | instskip(SKIP_2) | instid1(VALU_DEP_3)
	v_add_co_u32 v2, s0, s8, v118
	s_wait_alu 0xf1ff
	v_add_co_ci_u32_e64 v3, s0, s9, v119, s0
	v_lshlrev_b64_e32 v[0:1], 4, v[116:117]
	s_delay_alu instid0(VALU_DEP_1) | instskip(SKIP_1) | instid1(VALU_DEP_2)
	v_add_co_u32 v92, s0, v2, v0
	s_wait_alu 0xf1ff
	v_add_co_ci_u32_e64 v93, s0, v3, v1, s0
	s_clause 0x17
	global_load_b128 v[0:3], v[92:93], off
	global_load_b128 v[4:7], v[92:93], off offset:1008
	global_load_b128 v[68:71], v[92:93], off offset:12096
	;; [unrolled: 1-line block ×23, first 2 shown]
; %bb.11:
	s_wait_alu 0xfffe
	s_or_b32 exec_lo, exec_lo, s1
	s_wait_loadcnt 0x4
	v_add_f64_e64 v[150:151], v[52:53], -v[84:85]
	s_wait_loadcnt 0x1
	v_add_f64_e64 v[154:155], v[60:61], -v[88:89]
	v_add_f64_e64 v[102:103], v[0:1], -v[68:69]
	v_add_f64_e64 v[72:73], v[4:5], -v[72:73]
	v_add_f64_e64 v[106:107], v[8:9], -v[28:29]
	v_add_f64_e64 v[110:111], v[12:13], -v[32:33]
	v_add_f64_e64 v[114:115], v[16:17], -v[40:41]
	v_add_f64_e64 v[122:123], v[20:21], -v[48:49]
	v_add_f64_e64 v[131:132], v[24:25], -v[56:57]
	v_add_f64_e64 v[135:136], v[36:37], -v[64:65]
	v_add_f64_e64 v[146:147], v[44:45], -v[80:81]
	s_wait_loadcnt 0x0
	v_add_f64_e64 v[158:159], v[76:77], -v[92:93]
	v_add_f64_e64 v[68:69], v[2:3], -v[70:71]
	;; [unrolled: 1-line block ×11, first 2 shown]
	v_add_nc_u32_e32 v128, 63, v116
	v_add_nc_u32_e32 v117, 0x7e, v116
	;; [unrolled: 1-line block ×4, first 2 shown]
	v_lshl_add_u32 v48, v116, 4, 0
	v_add_nc_u32_e32 v127, 0x13b, v116
	v_add_nc_u32_e32 v124, 0x17a, v116
	;; [unrolled: 1-line block ×7, first 2 shown]
	v_lshl_add_u32 v49, v128, 4, 0
	v_lshl_add_u32 v94, v126, 4, 0
	;; [unrolled: 1-line block ×4, first 2 shown]
	v_fma_f64 v[148:149], v[52:53], 2.0, -v[150:151]
	v_add_f64_e64 v[52:53], v[10:11], -v[30:31]
	v_fma_f64 v[152:153], v[60:61], 2.0, -v[154:155]
	v_add_f64_e64 v[60:61], v[14:15], -v[34:35]
	v_fma_f64 v[100:101], v[0:1], 2.0, -v[102:103]
	v_fma_f64 v[70:71], v[4:5], 2.0, -v[72:73]
	;; [unrolled: 1-line block ×11, first 2 shown]
	v_lshl_add_u32 v76, v117, 4, 0
	v_fma_f64 v[82:83], v[6:7], 2.0, -v[84:85]
	v_lshl_add_u32 v77, v140, 4, 0
	v_lshl_add_u32 v162, v125, 4, 0
	;; [unrolled: 1-line block ×6, first 2 shown]
	v_fma_f64 v[86:87], v[22:23], 2.0, -v[88:89]
	v_fma_f64 v[62:63], v[62:63], 2.0, -v[64:65]
	v_fma_f64 v[90:91], v[26:27], 2.0, -v[92:93]
	v_fma_f64 v[78:79], v[78:79], 2.0, -v[80:81]
	v_fma_f64 v[54:55], v[54:55], 2.0, -v[56:57]
	v_lshl_add_u32 v141, v116, 3, 0
	v_lshlrev_b32_e32 v99, 1, v99
	v_and_b32_e32 v186, 3, v97
	v_and_b32_e32 v187, 3, v96
	v_lshrrev_b32_e32 v197, 3, v125
	v_add_nc_u32_e32 v142, 0x1400, v141
	v_add_nc_u32_e32 v143, 0x1800, v141
	v_and_b32_e32 v199, 0xff, v128
	s_mov_b32 s2, 0xe8584caa
	s_mov_b32 s3, 0x3febb67a
	ds_store_b128 v48, v[100:103]
	ds_store_b128 v49, v[70:73]
	;; [unrolled: 1-line block ×12, first 2 shown]
	v_fma_f64 v[50:51], v[10:11], 2.0, -v[52:53]
	v_fma_f64 v[58:59], v[14:15], 2.0, -v[60:61]
	;; [unrolled: 1-line block ×5, first 2 shown]
	v_and_b32_e32 v100, 1, v116
	v_and_b32_e32 v102, 1, v140
	v_and_b32_e32 v103, 1, v127
	v_and_b32_e32 v101, 1, v128
	v_add_nc_u32_e32 v149, 0x400, v141
	v_and_b32_e32 v106, 1, v125
	global_wb scope:SCOPE_SE
	s_wait_dscnt 0x0
	s_barrier_signal -1
	s_barrier_wait -1
	global_inv scope:SCOPE_SE
	v_add_nc_u32_e32 v146, 0x1c00, v141
	v_add_nc_u32_e32 v145, 0x800, v141
	;; [unrolled: 1-line block ×7, first 2 shown]
	ds_load_2addr_b64 v[0:3], v141 offset1:63
	ds_load_2addr_b64 v[24:27], v142 offset0:116 offset1:179
	ds_load_2addr_b64 v[4:7], v141 offset0:126 offset1:189
	;; [unrolled: 1-line block ×11, first 2 shown]
	global_wb scope:SCOPE_SE
	s_wait_dscnt 0x0
	s_barrier_signal -1
	s_barrier_wait -1
	global_inv scope:SCOPE_SE
	v_and_b32_e32 v104, 1, v98
	v_and_b32_e32 v121, 1, v96
	v_lshlrev_b32_e32 v133, 1, v128
	v_lshlrev_b32_e32 v110, 1, v117
	ds_store_b128 v48, v[66:69]
	ds_store_b128 v49, v[82:85]
	;; [unrolled: 1-line block ×10, first 2 shown]
	v_lshlrev_b32_e32 v48, 4, v100
	v_lshlrev_b32_e32 v56, 4, v102
	;; [unrolled: 1-line block ×5, first 2 shown]
	ds_store_b128 v165, v[62:65]
	ds_store_b128 v166, v[78:81]
	global_wb scope:SCOPE_SE
	s_wait_dscnt 0x0
	s_barrier_signal -1
	s_barrier_wait -1
	global_inv scope:SCOPE_SE
	s_clause 0x3
	global_load_b128 v[48:51], v48, s[4:5]
	global_load_b128 v[52:55], v52, s[4:5]
	;; [unrolled: 1-line block ×4, first 2 shown]
	v_lshlrev_b32_e32 v56, 4, v104
	v_lshlrev_b32_e32 v72, 4, v121
	s_clause 0x2
	global_load_b128 v[68:71], v58, s[4:5]
	global_load_b128 v[56:59], v56, s[4:5]
	;; [unrolled: 1-line block ×3, first 2 shown]
	ds_load_2addr_b64 v[92:95], v142 offset0:116 offset1:179
	ds_load_2addr_b64 v[88:91], v143 offset0:114 offset1:177
	;; [unrolled: 1-line block ×6, first 2 shown]
	v_lshlrev_b32_e32 v120, 1, v116
	v_lshlrev_b32_e32 v108, 1, v140
	;; [unrolled: 1-line block ×7, first 2 shown]
	v_and_or_b32 v96, 0xfc, v133, v101
	v_and_or_b32 v97, 0x1fc, v110, v100
	;; [unrolled: 1-line block ×6, first 2 shown]
	v_lshlrev_b32_e32 v115, 1, v125
	v_lshlrev_b32_e32 v111, 1, v98
	v_and_b32_e32 v132, 3, v117
	v_and_b32_e32 v135, 3, v128
	;; [unrolled: 1-line block ×8, first 2 shown]
	v_and_or_b32 v106, 0x3fc, v115, v106
	v_and_or_b32 v104, 0x4fc, v111, v104
	;; [unrolled: 1-line block ×3, first 2 shown]
	v_lshlrev_b32_e32 v185, 4, v105
	v_mul_lo_u16 v199, 0xab, v199
	v_lshl_add_u32 v106, v106, 3, 0
	v_lshl_add_u32 v104, v104, 3, 0
	;; [unrolled: 1-line block ×3, first 2 shown]
	s_mov_b32 s7, 0xbfebb67a
	s_wait_alu 0xfffe
	s_mov_b32 s6, s2
	v_cmp_gt_u32_e64 s0, 9, v116
	s_wait_loadcnt_dscnt 0x602
	v_mul_f64_e32 v[162:163], v[80:81], v[50:51]
	s_wait_dscnt 0x1
	v_mul_f64_e32 v[166:167], v[76:77], v[50:51]
	s_wait_dscnt 0x0
	v_mul_f64_e32 v[170:171], v[136:137], v[50:51]
	v_mul_f64_e32 v[150:151], v[92:93], v[50:51]
	s_wait_loadcnt 0x5
	v_mul_f64_e32 v[152:153], v[94:95], v[54:55]
	v_mul_f64_e32 v[174:175], v[24:25], v[50:51]
	s_wait_loadcnt 0x2
	v_mul_f64_e32 v[164:165], v[82:83], v[70:71]
	s_wait_loadcnt 0x1
	;; [unrolled: 2-line block ×3, first 2 shown]
	v_mul_f64_e32 v[172:173], v[138:139], v[74:75]
	v_mul_f64_e32 v[154:155], v[88:89], v[50:51]
	;; [unrolled: 1-line block ×16, first 2 shown]
	v_fma_f64 v[36:37], v[36:37], v[48:49], -v[162:163]
	v_fma_f64 v[40:41], v[40:41], v[48:49], -v[166:167]
	;; [unrolled: 1-line block ×5, first 2 shown]
	v_fma_f64 v[92:93], v[92:93], v[48:49], v[174:175]
	v_fma_f64 v[38:39], v[38:39], v[68:69], -v[164:165]
	v_fma_f64 v[42:43], v[42:43], v[56:57], -v[168:169]
	;; [unrolled: 1-line block ×4, first 2 shown]
	v_fma_f64 v[52:53], v[94:95], v[52:53], v[54:55]
	v_fma_f64 v[156:157], v[30:31], v[60:61], -v[156:157]
	v_fma_f64 v[54:55], v[88:89], v[48:49], v[176:177]
	v_fma_f64 v[158:159], v[32:33], v[48:49], -v[158:159]
	;; [unrolled: 2-line block ×3, first 2 shown]
	v_fma_f64 v[62:63], v[84:85], v[48:49], v[178:179]
	v_fma_f64 v[64:65], v[86:87], v[64:65], v[66:67]
	;; [unrolled: 1-line block ×8, first 2 shown]
	ds_load_2addr_b64 v[24:27], v141 offset1:63
	ds_load_2addr_b64 v[28:31], v141 offset0:126 offset1:189
	ds_load_2addr_b64 v[32:35], v149 offset0:124 offset1:187
	v_and_or_b32 v162, 0x3fc, v114, v100
	v_and_or_b32 v163, 0x7fc, v99, v100
	;; [unrolled: 1-line block ×3, first 2 shown]
	v_lshl_add_u32 v172, v96, 3, 0
	v_lshl_add_u32 v173, v97, 3, 0
	;; [unrolled: 1-line block ×9, first 2 shown]
	v_lshlrev_b32_e32 v165, 4, v132
	v_add_f64_e64 v[82:83], v[12:13], -v[36:37]
	v_add_f64_e64 v[86:87], v[16:17], -v[40:41]
	;; [unrolled: 1-line block ×5, first 2 shown]
	s_wait_dscnt 0x2
	v_add_f64_e64 v[92:93], v[24:25], -v[92:93]
	v_add_f64_e64 v[84:85], v[14:15], -v[38:39]
	ds_load_2addr_b64 v[36:39], v145 offset0:122 offset1:185
	v_add_f64_e64 v[88:89], v[18:19], -v[42:43]
	ds_load_2addr_b64 v[40:43], v123 offset0:120 offset1:183
	;; [unrolled: 2-line block ×3, first 2 shown]
	v_add_f64_e64 v[74:75], v[4:5], -v[154:155]
	v_add_f64_e64 v[52:53], v[26:27], -v[52:53]
	;; [unrolled: 1-line block ×3, first 2 shown]
	s_wait_dscnt 0x4
	v_add_f64_e64 v[54:55], v[28:29], -v[54:55]
	v_add_f64_e64 v[78:79], v[8:9], -v[158:159]
	v_add_f64_e64 v[60:61], v[30:31], -v[60:61]
	v_add_f64_e64 v[80:81], v[10:11], -v[160:161]
	s_wait_dscnt 0x3
	v_add_f64_e64 v[62:63], v[32:33], -v[62:63]
	v_add_f64_e64 v[64:65], v[34:35], -v[64:65]
	v_lshlrev_b32_e32 v169, 4, v135
	v_lshlrev_b32_e32 v166, 4, v131
	;; [unrolled: 1-line block ×6, first 2 shown]
	s_wait_dscnt 0x2
	v_add_f64_e64 v[66:67], v[36:37], -v[66:67]
	v_add_f64_e64 v[68:69], v[38:39], -v[68:69]
	s_wait_dscnt 0x1
	v_add_f64_e64 v[70:71], v[40:41], -v[70:71]
	v_add_f64_e64 v[56:57], v[42:43], -v[56:57]
	;; [unrolled: 3-line block ×3, first 2 shown]
	global_wb scope:SCOPE_SE
	s_barrier_signal -1
	s_barrier_wait -1
	global_inv scope:SCOPE_SE
	v_and_or_b32 v99, 0x7f8, v99, v105
	v_fma_f64 v[12:13], v[12:13], 2.0, -v[82:83]
	v_fma_f64 v[16:17], v[16:17], 2.0, -v[86:87]
	;; [unrolled: 1-line block ×7, first 2 shown]
	v_and_or_b32 v98, 0x4f8, v111, v98
	v_fma_f64 v[18:19], v[18:19], 2.0, -v[88:89]
	v_fma_f64 v[22:23], v[22:23], 2.0, -v[94:95]
	;; [unrolled: 1-line block ×11, first 2 shown]
	ds_store_2addr_b64 v164, v[0:1], v[58:59] offset1:2
	ds_store_2addr_b64 v172, v[2:3], v[72:73] offset1:2
	;; [unrolled: 1-line block ×12, first 2 shown]
	v_fma_f64 v[152:153], v[36:37], 2.0, -v[66:67]
	v_fma_f64 v[154:155], v[38:39], 2.0, -v[68:69]
	;; [unrolled: 1-line block ×6, first 2 shown]
	v_lshlrev_b32_e32 v80, 4, v186
	global_wb scope:SCOPE_SE
	s_wait_dscnt 0x0
	s_barrier_signal -1
	s_barrier_wait -1
	global_inv scope:SCOPE_SE
	ds_load_2addr_b64 v[0:3], v141 offset1:63
	ds_load_2addr_b64 v[4:7], v142 offset0:116 offset1:179
	ds_load_2addr_b64 v[8:11], v141 offset0:126 offset1:189
	ds_load_2addr_b64 v[12:15], v143 offset0:114 offset1:177
	ds_load_2addr_b64 v[16:19], v149 offset0:124 offset1:187
	ds_load_2addr_b64 v[20:23], v146 offset0:112 offset1:175
	ds_load_2addr_b64 v[24:27], v145 offset0:122 offset1:185
	ds_load_2addr_b64 v[28:31], v144 offset0:110 offset1:173
	ds_load_2addr_b64 v[32:35], v123 offset0:120 offset1:183
	ds_load_2addr_b64 v[36:39], v122 offset0:108 offset1:171
	ds_load_2addr_b64 v[40:43], v148 offset0:118 offset1:181
	ds_load_2addr_b64 v[44:47], v147 offset0:106 offset1:169
	global_wb scope:SCOPE_SE
	s_wait_dscnt 0x0
	s_barrier_signal -1
	s_barrier_wait -1
	global_inv scope:SCOPE_SE
	ds_store_2addr_b64 v164, v[96:97], v[92:93] offset1:2
	ds_store_2addr_b64 v172, v[100:101], v[52:53] offset1:2
	;; [unrolled: 1-line block ×12, first 2 shown]
	global_wb scope:SCOPE_SE
	s_wait_dscnt 0x0
	s_barrier_signal -1
	s_barrier_wait -1
	global_inv scope:SCOPE_SE
	s_clause 0x5
	global_load_b128 v[48:51], v169, s[4:5] offset:32
	global_load_b128 v[52:55], v185, s[4:5] offset:32
	;; [unrolled: 1-line block ×6, first 2 shown]
	v_lshlrev_b32_e32 v84, 4, v187
	s_clause 0x3
	global_load_b128 v[72:75], v168, s[4:5] offset:32
	global_load_b128 v[76:79], v170, s[4:5] offset:32
	;; [unrolled: 1-line block ×4, first 2 shown]
	ds_load_2addr_b64 v[88:91], v142 offset0:116 offset1:179
	ds_load_2addr_b64 v[92:95], v143 offset0:114 offset1:177
	;; [unrolled: 1-line block ×6, first 2 shown]
	v_and_or_b32 v104, 0xf8, v133, v135
	v_and_or_b32 v106, 0x5f8, v113, v187
	v_and_b32_e32 v121, 7, v116
	s_delay_alu instid0(VALU_DEP_3)
	v_lshl_add_u32 v133, v104, 3, 0
	s_wait_loadcnt_dscnt 0x704
	v_mul_f64_e32 v[160:161], v[92:93], v[58:59]
	v_mul_f64_e32 v[158:159], v[90:91], v[50:51]
	s_wait_loadcnt_dscnt 0x502
	v_mul_f64_e32 v[168:169], v[136:137], v[66:67]
	s_wait_loadcnt 0x3
	v_mul_f64_e32 v[170:171], v[138:139], v[74:75]
	s_wait_dscnt 0x1
	v_mul_f64_e32 v[172:173], v[150:151], v[54:55]
	s_wait_loadcnt 0x2
	v_mul_f64_e32 v[174:175], v[152:153], v[78:79]
	s_wait_loadcnt_dscnt 0x100
	v_mul_f64_e32 v[176:177], v[154:155], v[82:83]
	s_wait_loadcnt 0x0
	v_mul_f64_e32 v[178:179], v[156:157], v[86:87]
	v_mul_f64_e32 v[96:97], v[88:89], v[54:55]
	;; [unrolled: 1-line block ×17, first 2 shown]
	v_fma_f64 v[160:161], v[12:13], v[56:57], -v[160:161]
	v_fma_f64 v[158:159], v[6:7], v[48:49], -v[158:159]
	;; [unrolled: 1-line block ×9, first 2 shown]
	v_fma_f64 v[88:89], v[88:89], v[52:53], v[180:181]
	v_fma_f64 v[48:49], v[90:91], v[48:49], v[50:51]
	;; [unrolled: 1-line block ×3, first 2 shown]
	v_fma_f64 v[162:163], v[14:15], v[60:61], -v[162:163]
	v_fma_f64 v[56:57], v[94:95], v[60:61], v[62:63]
	v_fma_f64 v[164:165], v[20:21], v[52:53], -v[164:165]
	v_fma_f64 v[58:59], v[100:101], v[52:53], v[182:183]
	;; [unrolled: 2-line block ×3, first 2 shown]
	v_fma_f64 v[62:63], v[136:137], v[64:65], v[66:67]
	v_fma_f64 v[64:65], v[138:139], v[72:73], v[74:75]
	;; [unrolled: 1-line block ×6, first 2 shown]
	v_and_or_b32 v4, 0x78, v120, v105
	v_and_or_b32 v100, 0x2f8, v109, v134
	;; [unrolled: 1-line block ×5, first 2 shown]
	v_lshl_add_u32 v169, v4, 3, 0
	ds_load_2addr_b64 v[4:7], v141 offset1:63
	ds_load_2addr_b64 v[12:15], v141 offset0:126 offset1:189
	ds_load_2addr_b64 v[20:23], v149 offset0:124 offset1:187
	v_and_or_b32 v105, 0x5f8, v112, v186
	v_lshl_add_u32 v150, v99, 3, 0
	v_lshl_add_u32 v151, v98, 3, 0
	;; [unrolled: 1-line block ×6, first 2 shown]
	v_add_f64_e64 v[74:75], v[8:9], -v[160:161]
	v_add_f64_e64 v[72:73], v[2:3], -v[158:159]
	;; [unrolled: 1-line block ×4, first 2 shown]
	ds_load_2addr_b64 v[28:31], v145 offset0:122 offset1:185
	v_add_f64_e64 v[86:87], v[32:33], -v[36:37]
	v_add_f64_e64 v[90:91], v[34:35], -v[38:39]
	ds_load_2addr_b64 v[36:39], v123 offset0:120 offset1:183
	v_add_f64_e64 v[92:93], v[40:41], -v[44:45]
	v_add_f64_e64 v[94:95], v[42:43], -v[46:47]
	ds_load_2addr_b64 v[44:47], v148 offset0:118 offset1:181
	v_add_f64_e64 v[70:71], v[0:1], -v[96:97]
	s_wait_dscnt 0x5
	v_add_f64_e64 v[88:89], v[4:5], -v[88:89]
	v_add_f64_e64 v[48:49], v[6:7], -v[48:49]
	s_wait_dscnt 0x4
	v_add_f64_e64 v[50:51], v[12:13], -v[50:51]
	v_add_f64_e64 v[76:77], v[10:11], -v[162:163]
	;; [unrolled: 1-line block ×4, first 2 shown]
	s_wait_dscnt 0x3
	v_add_f64_e64 v[58:59], v[20:21], -v[58:59]
	v_add_f64_e64 v[80:81], v[18:19], -v[166:167]
	;; [unrolled: 1-line block ×3, first 2 shown]
	v_and_or_b32 v96, 0x1f8, v110, v132
	v_and_or_b32 v97, 0x1f8, v108, v131
	v_lshl_add_u32 v152, v105, 3, 0
	s_wait_dscnt 0x2
	v_add_f64_e64 v[62:63], v[28:29], -v[62:63]
	v_add_f64_e64 v[64:65], v[30:31], -v[64:65]
	v_lshl_add_u32 v134, v96, 3, 0
	s_wait_dscnt 0x1
	v_add_f64_e64 v[52:53], v[36:37], -v[52:53]
	v_add_f64_e64 v[54:55], v[38:39], -v[54:55]
	;; [unrolled: 4-line block ×3, first 2 shown]
	v_lshl_add_u32 v153, v106, 3, 0
	v_lshlrev_b32_e32 v168, 5, v121
	global_wb scope:SCOPE_SE
	s_barrier_signal -1
	s_barrier_wait -1
	global_inv scope:SCOPE_SE
	v_fma_f64 v[8:9], v[8:9], 2.0, -v[74:75]
	v_fma_f64 v[2:3], v[2:3], 2.0, -v[72:73]
	;; [unrolled: 1-line block ×4, first 2 shown]
	v_lshrrev_b32_e32 v165, 3, v128
	v_fma_f64 v[32:33], v[32:33], 2.0, -v[86:87]
	v_fma_f64 v[34:35], v[34:35], 2.0, -v[90:91]
	v_lshrrev_b32_e32 v170, 3, v126
	v_fma_f64 v[40:41], v[40:41], 2.0, -v[92:93]
	v_fma_f64 v[42:43], v[42:43], 2.0, -v[94:95]
	v_mul_u32_u24_e32 v175, 24, v165
	v_fma_f64 v[0:1], v[0:1], 2.0, -v[70:71]
	v_fma_f64 v[96:97], v[4:5], 2.0, -v[88:89]
	;; [unrolled: 1-line block ×10, first 2 shown]
	ds_store_2addr_b64 v169, v[0:1], v[70:71] offset1:4
	ds_store_2addr_b64 v133, v[2:3], v[72:73] offset1:4
	;; [unrolled: 1-line block ×12, first 2 shown]
	v_fma_f64 v[108:109], v[28:29], 2.0, -v[62:63]
	v_fma_f64 v[110:111], v[30:31], 2.0, -v[64:65]
	;; [unrolled: 1-line block ×6, first 2 shown]
	global_wb scope:SCOPE_SE
	s_wait_dscnt 0x0
	s_barrier_signal -1
	s_barrier_wait -1
	global_inv scope:SCOPE_SE
	ds_load_2addr_b64 v[12:15], v141 offset1:63
	ds_load_2addr_b64 v[44:47], v123 offset0:120 offset1:183
	ds_load_2addr_b64 v[40:43], v146 offset0:112 offset1:175
	;; [unrolled: 1-line block ×11, first 2 shown]
	global_wb scope:SCOPE_SE
	s_wait_dscnt 0x0
	s_barrier_signal -1
	s_barrier_wait -1
	global_inv scope:SCOPE_SE
	ds_store_2addr_b64 v169, v[96:97], v[88:89] offset1:4
	ds_store_2addr_b64 v133, v[98:99], v[48:49] offset1:4
	ds_store_2addr_b64 v134, v[100:101], v[50:51] offset1:4
	ds_store_2addr_b64 v135, v[102:103], v[56:57] offset1:4
	ds_store_2addr_b64 v136, v[104:105], v[58:59] offset1:4
	ds_store_2addr_b64 v137, v[106:107], v[60:61] offset1:4
	ds_store_2addr_b64 v138, v[108:109], v[62:63] offset1:4
	ds_store_2addr_b64 v139, v[110:111], v[64:65] offset1:4
	ds_store_2addr_b64 v150, v[112:113], v[52:53] offset1:4
	ds_store_2addr_b64 v151, v[114:115], v[54:55] offset1:4
	ds_store_2addr_b64 v152, v[129:130], v[66:67] offset1:4
	ds_store_2addr_b64 v153, v[131:132], v[68:69] offset1:4
	v_and_b32_e32 v135, 7, v128
	global_wb scope:SCOPE_SE
	s_wait_dscnt 0x0
	s_barrier_signal -1
	s_barrier_wait -1
	global_inv scope:SCOPE_SE
	global_load_b128 v[52:55], v168, s[4:5] offset:96
	v_lshlrev_b32_e32 v60, 5, v135
	global_load_b128 v[56:59], v168, s[4:5] offset:112
	v_and_b32_e32 v136, 7, v117
	v_and_b32_e32 v137, 7, v140
	;; [unrolled: 1-line block ×3, first 2 shown]
	s_clause 0x1
	global_load_b128 v[48:51], v60, s[4:5] offset:96
	global_load_b128 v[60:63], v60, s[4:5] offset:112
	v_and_b32_e32 v139, 7, v127
	v_lshlrev_b32_e32 v68, 5, v136
	v_lshlrev_b32_e32 v69, 5, v137
	v_lshlrev_b32_e32 v88, 5, v138
	s_clause 0x1
	global_load_b128 v[72:75], v68, s[4:5] offset:96
	global_load_b128 v[64:67], v69, s[4:5] offset:96
	v_lshlrev_b32_e32 v92, 5, v139
	s_clause 0x5
	global_load_b128 v[84:87], v68, s[4:5] offset:112
	global_load_b128 v[76:79], v69, s[4:5] offset:112
	;; [unrolled: 1-line block ×6, first 2 shown]
	v_and_b32_e32 v151, 7, v124
	v_and_b32_e32 v152, 7, v125
	v_mul_u32_u24_e32 v193, 24, v170
	v_lshrrev_b32_e32 v150, 3, v117
	v_lshrrev_b32_e32 v169, 3, v140
	v_lshlrev_b32_e32 v100, 5, v151
	v_lshlrev_b32_e32 v108, 5, v152
	s_clause 0x3
	global_load_b128 v[96:99], v100, s[4:5] offset:96
	global_load_b128 v[100:103], v100, s[4:5] offset:112
	;; [unrolled: 1-line block ×4, first 2 shown]
	ds_load_2addr_b64 v[112:115], v123 offset0:120 offset1:183
	ds_load_2addr_b64 v[153:156], v146 offset0:112 offset1:175
	;; [unrolled: 1-line block ×3, first 2 shown]
	v_lshrrev_b32_e32 v129, 3, v116
	v_or_b32_e32 v205, v193, v138
	v_lshrrev_b32_e32 v173, 3, v127
	v_lshrrev_b32_e32 v174, 3, v124
	v_mul_u32_u24_e32 v176, 24, v150
	v_mul_u32_u24_e32 v189, 24, v169
	;; [unrolled: 1-line block ×3, first 2 shown]
	ds_load_2addr_b64 v[169:172], v122 offset0:108 offset1:171
	v_mul_u32_u24_e32 v200, 24, v173
	v_mul_u32_u24_e32 v201, 24, v174
	v_or_b32_e32 v202, v175, v135
	v_or_b32_e32 v203, v176, v136
	;; [unrolled: 1-line block ×3, first 2 shown]
	ds_load_2addr_b64 v[173:176], v143 offset0:114 offset1:177
	ds_load_2addr_b64 v[135:138], v147 offset0:106 offset1:169
	;; [unrolled: 1-line block ×3, first 2 shown]
	v_or_b32_e32 v121, v161, v121
	ds_load_2addr_b64 v[161:164], v144 offset0:110 offset1:173
	v_and_b32_e32 v130, 0xff, v116
	v_or_b32_e32 v201, v201, v151
	v_and_b32_e32 v129, 0xff, v117
	v_or_b32_e32 v139, v200, v139
	v_lshl_add_u32 v121, v121, 3, 0
	v_mul_lo_u16 v198, 0xab, v130
	v_and_b32_e32 v130, 0xff, v140
	v_and_b32_e32 v134, 0xffff, v126
	;; [unrolled: 1-line block ×3, first 2 shown]
	v_mul_lo_u16 v200, 0xab, v129
	v_lshl_add_u32 v139, v139, 3, 0
	v_and_b32_e32 v132, 0xffff, v124
	v_and_b32_e32 v131, 0xffff, v125
	s_wait_loadcnt_dscnt 0xf07
	v_mul_f64_e32 v[177:178], v[112:113], v[54:55]
	v_mul_f64_e32 v[54:55], v[44:45], v[54:55]
	s_wait_loadcnt_dscnt 0xe06
	v_mul_f64_e32 v[181:182], v[153:154], v[58:59]
	v_mul_f64_e32 v[58:59], v[40:41], v[58:59]
	s_wait_loadcnt 0xd
	v_mul_f64_e32 v[179:180], v[114:115], v[50:51]
	v_mul_f64_e32 v[50:51], v[46:47], v[50:51]
	s_wait_loadcnt 0xc
	v_mul_f64_e32 v[183:184], v[155:156], v[62:63]
	v_mul_f64_e32 v[62:63], v[42:43], v[62:63]
	s_wait_loadcnt_dscnt 0x900
	v_mul_f64_e32 v[189:190], v[161:162], v[86:87]
	v_mul_f64_e32 v[185:186], v[157:158], v[74:75]
	s_wait_loadcnt 0x7
	v_mul_f64_e32 v[193:194], v[165:166], v[70:71]
	s_wait_loadcnt 0x6
	v_mul_f64_e32 v[195:196], v[167:168], v[82:83]
	v_mul_f64_e32 v[74:75], v[36:37], v[74:75]
	;; [unrolled: 1-line block ×8, first 2 shown]
	v_fma_f64 v[44:45], v[44:45], v[52:53], -v[177:178]
	v_fma_f64 v[52:53], v[112:113], v[52:53], v[54:55]
	v_mul_u32_u24_e32 v113, 24, v197
	s_wait_loadcnt 0x4
	v_mul_f64_e32 v[177:178], v[171:172], v[94:95]
	v_lshrrev_b16 v112, 12, v198
	s_wait_loadcnt 0x0
	v_mul_f64_e32 v[197:198], v[137:138], v[110:111]
	v_fma_f64 v[46:47], v[46:47], v[48:49], -v[179:180]
	v_or_b32_e32 v206, v113, v152
	v_mul_f64_e32 v[151:152], v[173:174], v[98:99]
	v_fma_f64 v[48:49], v[114:115], v[48:49], v[50:51]
	v_mul_f64_e32 v[50:51], v[135:136], v[102:103]
	v_mul_f64_e32 v[179:180], v[175:176], v[106:107]
	v_fma_f64 v[40:41], v[40:41], v[56:57], -v[181:182]
	v_fma_f64 v[56:57], v[153:154], v[56:57], v[58:59]
	v_mul_f64_e32 v[58:59], v[32:33], v[86:87]
	v_mul_f64_e32 v[54:55], v[169:170], v[90:91]
	;; [unrolled: 1-line block ×6, first 2 shown]
	v_fma_f64 v[106:107], v[28:29], v[68:69], -v[193:194]
	v_mul_f64_e32 v[28:29], v[20:21], v[102:103]
	v_fma_f64 v[153:154], v[30:31], v[80:81], -v[195:196]
	v_mul_f64_e32 v[30:31], v[22:23], v[110:111]
	v_fma_f64 v[42:43], v[42:43], v[60:61], -v[183:184]
	v_fma_f64 v[60:61], v[155:156], v[60:61], v[62:63]
	v_fma_f64 v[36:37], v[36:37], v[72:73], -v[185:186]
	v_fma_f64 v[32:33], v[32:33], v[84:85], -v[189:190]
	v_fma_f64 v[62:63], v[157:158], v[72:73], v[74:75]
	v_fma_f64 v[38:39], v[38:39], v[64:65], -v[187:188]
	v_fma_f64 v[34:35], v[34:35], v[76:77], -v[191:192]
	v_fma_f64 v[64:65], v[159:160], v[64:65], v[66:67]
	v_fma_f64 v[66:67], v[163:164], v[76:77], v[78:79]
	;; [unrolled: 1-line block ×4, first 2 shown]
	v_lshrrev_b16 v115, 12, v199
	v_lshl_add_u32 v191, v202, 3, 0
	v_lshl_add_u32 v192, v203, 3, 0
	;; [unrolled: 1-line block ×5, first 2 shown]
	v_fma_f64 v[102:103], v[26:27], v[92:93], -v[177:178]
	v_lshl_add_u32 v196, v206, 3, 0
	v_fma_f64 v[177:178], v[22:23], v[108:109], -v[197:198]
	v_fma_f64 v[110:111], v[16:17], v[96:97], -v[151:152]
	;; [unrolled: 1-line block ×4, first 2 shown]
	ds_load_2addr_b64 v[16:19], v141 offset1:63
	ds_load_2addr_b64 v[20:23], v141 offset0:126 offset1:189
	v_fma_f64 v[58:59], v[161:162], v[84:85], v[58:59]
	v_fma_f64 v[54:55], v[24:25], v[88:89], -v[54:55]
	v_fma_f64 v[70:71], v[169:170], v[88:89], v[86:87]
	v_fma_f64 v[74:75], v[171:172], v[92:93], v[90:91]
	;; [unrolled: 1-line block ×4, first 2 shown]
	v_add_f64_e32 v[84:85], v[44:45], v[40:41]
	v_fma_f64 v[80:81], v[135:136], v[100:101], v[28:29]
	v_add_f64_e32 v[104:105], v[52:53], v[56:57]
	v_fma_f64 v[82:83], v[137:138], v[108:109], v[30:31]
	v_add_f64_e32 v[86:87], v[46:47], v[42:43]
	v_add_f64_e32 v[137:138], v[48:49], v[60:61]
	v_mul_lo_u16 v24, v112, 24
	v_add_f64_e32 v[88:89], v[36:37], v[32:33]
	v_mul_lo_u16 v25, v115, 24
	ds_load_2addr_b64 v[28:31], v145 offset0:122 offset1:185
	v_add_f64_e32 v[92:93], v[38:39], v[34:35]
	v_sub_nc_u16 v24, v116, v24
	v_add_f64_e32 v[165:166], v[64:65], v[66:67]
	v_add_f64_e32 v[90:91], v[12:13], v[44:45]
	v_add_f64_e64 v[94:95], v[52:53], -v[56:57]
	v_add_f64_e32 v[98:99], v[14:15], v[46:47]
	v_and_b32_e32 v114, 0xff, v24
	v_sub_nc_u16 v24, v128, v25
	s_wait_dscnt 0x2
	v_add_f64_e32 v[52:53], v[16:17], v[52:53]
	v_add_f64_e32 v[173:174], v[6:7], v[153:154]
	v_add_f64_e64 v[44:45], v[44:45], -v[40:41]
	v_add_f64_e32 v[100:101], v[153:154], v[102:103]
	v_and_b32_e32 v113, 0xff, v24
	ds_load_2addr_b64 v[24:27], v149 offset0:124 offset1:187
	v_add_f64_e32 v[155:156], v[18:19], v[48:49]
	v_add_f64_e64 v[48:49], v[48:49], -v[60:61]
	v_add_f64_e32 v[181:182], v[0:1], v[110:111]
	v_add_f64_e64 v[46:47], v[46:47], -v[42:43]
	v_add_f64_e32 v[108:109], v[110:111], v[50:51]
	v_add_f64_e32 v[135:136], v[151:152], v[177:178]
	;; [unrolled: 1-line block ×8, first 2 shown]
	v_add_f64_e64 v[171:172], v[68:69], -v[70:71]
	v_add_f64_e64 v[159:160], v[62:63], -v[58:59]
	v_fma_f64 v[12:13], v[84:85], -0.5, v[12:13]
	v_add_f64_e32 v[183:184], v[76:77], v[80:81]
	v_add_f64_e64 v[84:85], v[76:77], -v[80:81]
	v_add_f64_e32 v[185:186], v[78:79], v[82:83]
	v_fma_f64 v[14:15], v[86:87], -0.5, v[14:15]
	s_wait_dscnt 0x0
	v_add_f64_e32 v[187:188], v[26:27], v[72:73]
	v_add_f64_e64 v[72:73], v[72:73], -v[74:75]
	v_add_f64_e32 v[86:87], v[30:31], v[78:79]
	v_add_f64_e64 v[78:79], v[78:79], -v[82:83]
	v_fma_f64 v[16:17], v[104:105], -0.5, v[16:17]
	v_add_f64_e32 v[68:69], v[24:25], v[68:69]
	v_add_f64_e32 v[76:77], v[28:29], v[76:77]
	v_fma_f64 v[18:19], v[137:138], -0.5, v[18:19]
	v_add_f64_e32 v[62:63], v[20:21], v[62:63]
	v_fma_f64 v[8:9], v[88:89], -0.5, v[8:9]
	v_add_f64_e64 v[36:37], v[36:37], -v[32:33]
	v_add_f64_e32 v[161:162], v[10:11], v[38:39]
	v_add_f64_e32 v[167:168], v[22:23], v[64:65]
	v_add_f64_e64 v[64:65], v[64:65], -v[66:67]
	v_fma_f64 v[10:11], v[92:93], -0.5, v[10:11]
	v_add_f64_e64 v[38:39], v[38:39], -v[34:35]
	v_fma_f64 v[6:7], v[100:101], -0.5, v[6:7]
	v_fma_f64 v[22:23], v[165:166], -0.5, v[22:23]
	v_add_f64_e32 v[169:170], v[4:5], v[106:107]
	v_add_f64_e64 v[88:89], v[106:107], -v[54:55]
	v_add_f64_e64 v[92:93], v[153:154], -v[102:103]
	v_add_f64_e64 v[100:101], v[151:152], -v[177:178]
	v_add_f64_e32 v[40:41], v[90:91], v[40:41]
	v_fma_f64 v[0:1], v[108:109], -0.5, v[0:1]
	v_fma_f64 v[2:3], v[135:136], -0.5, v[2:3]
	v_add_f64_e32 v[42:43], v[98:99], v[42:43]
	v_add_f64_e32 v[52:53], v[52:53], v[56:57]
	v_fma_f64 v[20:21], v[163:164], -0.5, v[20:21]
	v_fma_f64 v[4:5], v[96:97], -0.5, v[4:5]
	;; [unrolled: 1-line block ×4, first 2 shown]
	v_add_f64_e64 v[96:97], v[110:111], -v[50:51]
	v_add_f64_e32 v[60:61], v[155:156], v[60:61]
	v_fma_f64 v[98:99], v[94:95], s[2:3], v[12:13]
	v_fma_f64 v[28:29], v[183:184], -0.5, v[28:29]
	s_wait_alu 0xfffe
	v_fma_f64 v[12:13], v[94:95], s[6:7], v[12:13]
	v_fma_f64 v[30:31], v[185:186], -0.5, v[30:31]
	v_fma_f64 v[94:95], v[48:49], s[2:3], v[14:15]
	v_fma_f64 v[14:15], v[48:49], s[6:7], v[14:15]
	v_add_f64_e32 v[32:33], v[157:158], v[32:33]
	v_add_f64_e32 v[90:91], v[173:174], v[102:103]
	;; [unrolled: 1-line block ×7, first 2 shown]
	v_fma_f64 v[80:81], v[46:47], s[6:7], v[18:19]
	v_fma_f64 v[46:47], v[46:47], s[2:3], v[18:19]
	v_fma_f64 v[48:49], v[159:160], s[2:3], v[8:9]
	v_add_f64_e32 v[62:63], v[62:63], v[58:59]
	v_add_f64_e32 v[76:77], v[86:87], v[82:83]
	v_fma_f64 v[8:9], v[159:160], s[6:7], v[8:9]
	v_add_f64_e32 v[34:35], v[161:162], v[34:35]
	v_fma_f64 v[102:103], v[64:65], s[2:3], v[10:11]
	v_fma_f64 v[104:105], v[72:73], s[2:3], v[6:7]
	v_fma_f64 v[6:7], v[72:73], s[6:7], v[6:7]
	v_add_f64_e32 v[66:67], v[167:168], v[66:67]
	v_fma_f64 v[106:107], v[38:39], s[6:7], v[22:23]
	v_fma_f64 v[10:11], v[64:65], s[6:7], v[10:11]
	;; [unrolled: 4-line block ×3, first 2 shown]
	v_fma_f64 v[84:85], v[78:79], s[2:3], v[2:3]
	v_fma_f64 v[2:3], v[78:79], s[6:7], v[2:3]
	;; [unrolled: 1-line block ×16, first 2 shown]
	v_lshlrev_b32_e32 v197, 5, v114
	global_wb scope:SCOPE_SE
	s_barrier_signal -1
	s_barrier_wait -1
	global_inv scope:SCOPE_SE
	ds_store_2addr_b64 v121, v[40:41], v[98:99] offset1:8
	ds_store_b64 v121, v[12:13] offset:128
	ds_store_2addr_b64 v191, v[42:43], v[94:95] offset1:8
	ds_store_b64 v191, v[14:15] offset:128
	ds_store_2addr_b64 v192, v[32:33], v[48:49] offset1:8
	ds_store_b64 v192, v[8:9] offset:128
	ds_store_2addr_b64 v193, v[34:35], v[102:103] offset1:8
	ds_store_b64 v193, v[10:11] offset:128
	ds_store_2addr_b64 v194, v[54:55], v[64:65] offset1:8
	ds_store_b64 v194, v[4:5] offset:128
	ds_store_2addr_b64 v139, v[90:91], v[104:105] offset1:8
	ds_store_b64 v139, v[6:7] offset:128
	ds_store_2addr_b64 v195, v[50:51], v[72:73] offset1:8
	ds_store_b64 v195, v[0:1] offset:128
	ds_store_2addr_b64 v196, v[56:57], v[84:85] offset1:8
	ds_store_b64 v196, v[2:3] offset:128
	global_wb scope:SCOPE_SE
	s_wait_dscnt 0x0
	s_barrier_signal -1
	s_barrier_wait -1
	global_inv scope:SCOPE_SE
	ds_load_2addr_b64 v[12:15], v141 offset1:63
	ds_load_2addr_b64 v[56:59], v123 offset0:120 offset1:183
	ds_load_2addr_b64 v[40:43], v146 offset0:112 offset1:175
	;; [unrolled: 1-line block ×11, first 2 shown]
	global_wb scope:SCOPE_SE
	s_wait_dscnt 0x0
	s_barrier_signal -1
	s_barrier_wait -1
	global_inv scope:SCOPE_SE
	ds_store_2addr_b64 v121, v[52:53], v[78:79] offset1:8
	ds_store_b64 v121, v[44:45] offset:128
	ds_store_2addr_b64 v191, v[60:61], v[80:81] offset1:8
	ds_store_b64 v191, v[46:47] offset:128
	;; [unrolled: 2-line block ×8, first 2 shown]
	global_wb scope:SCOPE_SE
	s_wait_dscnt 0x0
	s_barrier_signal -1
	s_barrier_wait -1
	global_inv scope:SCOPE_SE
	s_clause 0x1
	global_load_b128 v[108:111], v197, s[4:5] offset:352
	global_load_b128 v[104:107], v197, s[4:5] offset:368
	v_mul_lo_u16 v44, 0xab, v130
	v_mul_u32_u24_e32 v45, 0xaaab, v134
	v_mul_u32_u24_e32 v46, 0xaaab, v133
	v_lshrrev_b16 v157, 12, v200
	v_lshlrev_b32_e32 v198, 5, v113
	v_lshrrev_b16 v158, 12, v44
	v_lshrrev_b32_e32 v136, 20, v45
	v_lshrrev_b32_e32 v135, 20, v46
	v_mul_lo_u16 v45, v157, 24
	v_mul_u32_u24_e32 v44, 0xaaab, v132
	v_mul_lo_u16 v46, v158, 24
	v_mul_lo_u16 v47, v136, 24
	;; [unrolled: 1-line block ×3, first 2 shown]
	v_sub_nc_u16 v45, v117, v45
	s_clause 0x1
	global_load_b128 v[92:95], v198, s[4:5] offset:352
	global_load_b128 v[64:67], v198, s[4:5] offset:368
	v_sub_nc_u16 v46, v140, v46
	v_sub_nc_u16 v47, v126, v47
	v_lshrrev_b32_e32 v139, 20, v44
	v_sub_nc_u16 v44, v127, v49
	v_and_b32_e32 v155, 0xff, v45
	v_and_b32_e32 v156, 0xff, v46
	;; [unrolled: 1-line block ×3, first 2 shown]
	v_mul_u32_u24_e32 v48, 0xaaab, v131
	v_and_b32_e32 v138, 0xffff, v44
	v_lshlrev_b32_e32 v44, 5, v155
	v_lshlrev_b32_e32 v45, 5, v156
	;; [unrolled: 1-line block ×3, first 2 shown]
	v_lshrrev_b32_e32 v152, 20, v48
	v_lshlrev_b32_e32 v61, 5, v138
	s_clause 0x5
	global_load_b128 v[68:71], v44, s[4:5] offset:352
	global_load_b128 v[48:51], v45, s[4:5] offset:352
	global_load_b128 v[80:83], v44, s[4:5] offset:368
	global_load_b128 v[72:75], v45, s[4:5] offset:368
	global_load_b128 v[52:55], v60, s[4:5] offset:352
	global_load_b128 v[44:47], v61, s[4:5] offset:352
	v_mul_lo_u16 v62, v139, 24
	v_mul_lo_u16 v84, v152, 24
	v_mov_b32_e32 v121, 0
	v_add_nc_u32_e32 v151, -9, v116
	v_mul_u32_u24_e32 v168, 0xe38f, v132
	v_sub_nc_u16 v85, v124, v62
	v_sub_nc_u16 v84, v125, v84
	s_clause 0x1
	global_load_b128 v[76:79], v60, s[4:5] offset:368
	global_load_b128 v[60:63], v61, s[4:5] offset:368
	v_lshlrev_b64_e32 v[159:160], 4, v[120:121]
	s_wait_alu 0xf1ff
	v_cndmask_b32_e64 v151, v151, v128, s0
	v_and_b32_e32 v153, 0xffff, v85
	v_and_b32_e32 v154, 0xffff, v84
	v_mul_lo_u16 v128, v129, 57
	v_mul_lo_u16 v129, v130, 57
	v_mul_u32_u24_e32 v130, 0xe38f, v134
	v_lshlrev_b32_e32 v96, 5, v153
	v_lshlrev_b32_e32 v100, 5, v154
	s_clause 0x3
	global_load_b128 v[84:87], v96, s[4:5] offset:352
	global_load_b128 v[88:91], v100, s[4:5] offset:352
	;; [unrolled: 1-line block ×4, first 2 shown]
	ds_load_2addr_b64 v[164:167], v123 offset0:120 offset1:183
	v_add_co_u32 v132, s0, s4, v159
	v_mul_u32_u24_e32 v134, 0xe38f, v133
	v_mul_u32_u24_e32 v169, 0xe38f, v131
	s_wait_alu 0xf1ff
	v_add_co_ci_u32_e64 v133, s0, s5, v160, s0
	v_lshrrev_b16 v160, 12, v128
	v_lshrrev_b16 v161, 12, v129
	v_lshrrev_b32_e32 v162, 22, v130
	ds_load_2addr_b64 v[128:131], v146 offset0:112 offset1:175
	v_lshrrev_b32_e32 v163, 22, v134
	v_lshrrev_b32_e32 v159, 22, v168
	;; [unrolled: 1-line block ×3, first 2 shown]
	ds_load_2addr_b64 v[168:171], v148 offset0:118 offset1:181
	ds_load_2addr_b64 v[172:175], v144 offset0:110 offset1:173
	ds_load_2addr_b64 v[176:179], v142 offset0:116 offset1:179
	v_and_b32_e32 v202, 0xffff, v157
	v_and_b32_e32 v203, 0xffff, v158
	;; [unrolled: 1-line block ×3, first 2 shown]
	v_mul_lo_u16 v134, 0x48, v134
	v_mul_lo_u16 v190, 0x48, v162
	;; [unrolled: 1-line block ×4, first 2 shown]
	v_mul_u32_u24_e32 v204, 0x240, v115
	v_sub_nc_u16 v208, v125, v134
	v_lshlrev_b32_e32 v134, 3, v114
	ds_load_2addr_b64 v[180:183], v122 offset0:108 offset1:171
	v_sub_nc_u16 v205, v126, v190
	v_sub_nc_u16 v206, v127, v191
	;; [unrolled: 1-line block ×3, first 2 shown]
	ds_load_2addr_b64 v[124:127], v143 offset0:114 offset1:177
	v_and_b32_e32 v112, 0xffff, v112
	v_lshlrev_b32_e32 v113, 3, v113
	v_lshlrev_b32_e32 v120, 1, v151
	v_mul_lo_u16 v209, 0x48, v161
	s_delay_alu instid0(VALU_DEP_4) | instskip(NEXT) | instid1(VALU_DEP_4)
	v_mul_u32_u24_e32 v112, 0x240, v112
	v_add3_u32 v204, 0, v204, v113
	s_delay_alu instid0(VALU_DEP_4) | instskip(NEXT) | instid1(VALU_DEP_1)
	v_lshlrev_b64_e32 v[120:121], 4, v[120:121]
	v_add_co_u32 v120, s0, s4, v120
	s_wait_alu 0xf1ff
	s_delay_alu instid0(VALU_DEP_2)
	v_add_co_ci_u32_e64 v121, s0, s5, v121, s0
	v_cmp_lt_u32_e64 s0, 8, v116
	s_wait_loadcnt_dscnt 0xf06
	v_mul_f64_e32 v[184:185], v[164:165], v[110:111]
	v_mul_f64_e32 v[110:111], v[56:57], v[110:111]
	s_wait_loadcnt_dscnt 0xe05
	v_mul_f64_e32 v[157:158], v[128:129], v[106:107]
	v_mul_f64_e32 v[188:189], v[40:41], v[106:107]
	s_wait_loadcnt 0xd
	v_mul_f64_e32 v[186:187], v[166:167], v[94:95]
	v_mul_f64_e32 v[94:95], v[58:59], v[94:95]
	s_wait_loadcnt 0xc
	v_mul_f64_e32 v[190:191], v[130:131], v[66:67]
	v_mul_f64_e32 v[66:67], v[42:43], v[66:67]
	s_wait_loadcnt_dscnt 0x903
	v_mul_f64_e32 v[114:115], v[172:173], v[82:83]
	s_wait_loadcnt 0x8
	v_mul_f64_e32 v[196:197], v[174:175], v[74:75]
	s_wait_loadcnt_dscnt 0x702
	v_mul_f64_e32 v[198:199], v[176:177], v[54:55]
	s_wait_loadcnt 0x6
	v_mul_f64_e32 v[200:201], v[178:179], v[46:47]
	v_mul_f64_e32 v[192:193], v[168:169], v[70:71]
	;; [unrolled: 1-line block ×5, first 2 shown]
	v_fma_f64 v[56:57], v[56:57], v[108:109], -v[184:185]
	v_fma_f64 v[110:111], v[164:165], v[108:109], v[110:111]
	ds_load_2addr_b64 v[106:109], v147 offset0:106 offset1:169
	s_wait_loadcnt_dscnt 0x402
	v_mul_f64_e32 v[184:185], v[182:183], v[62:63]
	v_fma_f64 v[40:41], v[40:41], v[104:105], -v[157:158]
	v_fma_f64 v[104:105], v[128:129], v[104:105], v[188:189]
	v_mul_f64_e32 v[50:51], v[38:39], v[50:51]
	v_mul_f64_e32 v[74:75], v[34:35], v[74:75]
	;; [unrolled: 1-line block ×5, first 2 shown]
	v_fma_f64 v[58:59], v[58:59], v[92:93], -v[186:187]
	v_mul_u32_u24_e32 v186, 0x240, v202
	v_add3_u32 v202, 0, v112, v134
	v_lshlrev_b32_e32 v112, 3, v155
	v_lshlrev_b32_e32 v134, 3, v156
	v_fma_f64 v[92:93], v[166:167], v[92:93], v[94:95]
	s_wait_loadcnt_dscnt 0x301
	v_mul_f64_e32 v[94:95], v[124:125], v[86:87]
	s_wait_loadcnt_dscnt 0x100
	v_mul_f64_e32 v[155:156], v[106:107], v[98:99]
	v_add3_u32 v210, 0, v186, v112
	v_mul_f64_e32 v[112:113], v[126:127], v[90:91]
	s_wait_loadcnt 0x0
	v_mul_f64_e32 v[128:129], v[108:109], v[102:103]
	v_mul_f64_e32 v[86:87], v[16:17], v[86:87]
	;; [unrolled: 1-line block ×4, first 2 shown]
	v_fma_f64 v[114:115], v[32:33], v[80:81], -v[114:115]
	v_mul_f64_e32 v[32:33], v[24:25], v[78:79]
	v_fma_f64 v[157:158], v[34:35], v[72:73], -v[196:197]
	v_mul_f64_e32 v[34:35], v[26:27], v[62:63]
	v_mul_f64_e32 v[102:103], v[22:23], v[102:103]
	v_mul_u32_u24_e32 v187, 0x240, v203
	v_fma_f64 v[42:43], v[42:43], v[64:65], -v[190:191]
	v_fma_f64 v[62:63], v[28:29], v[52:53], -v[198:199]
	;; [unrolled: 1-line block ×3, first 2 shown]
	v_mul_u32_u24_e32 v28, 0x240, v135
	v_add3_u32 v211, 0, v187, v134
	v_fma_f64 v[166:167], v[26:27], v[60:61], -v[184:185]
	v_fma_f64 v[64:65], v[130:131], v[64:65], v[66:67]
	v_fma_f64 v[36:37], v[36:37], v[68:69], -v[192:193]
	v_fma_f64 v[66:67], v[168:169], v[68:69], v[70:71]
	v_fma_f64 v[68:69], v[172:173], v[80:81], v[82:83]
	v_fma_f64 v[38:39], v[38:39], v[48:49], -v[194:195]
	v_fma_f64 v[48:49], v[170:171], v[48:49], v[50:51]
	;; [unrolled: 3-line block ×3, first 2 shown]
	v_fma_f64 v[44:45], v[178:179], v[44:45], v[46:47]
	v_mul_u32_u24_e32 v27, 0x240, v136
	v_mul_u32_u24_e32 v30, 0x240, v152
	v_lshlrev_b32_e32 v136, 3, v138
	v_lshlrev_b32_e32 v138, 3, v154
	v_mul_u32_u24_e32 v29, 0x240, v139
	v_lshlrev_b32_e32 v31, 3, v137
	v_lshlrev_b32_e32 v137, 3, v153
	v_add3_u32 v188, 0, v28, v136
	v_fma_f64 v[94:95], v[16:17], v[84:85], -v[94:95]
	v_fma_f64 v[134:135], v[20:21], v[96:97], -v[155:156]
	v_add3_u32 v190, 0, v30, v138
	v_fma_f64 v[112:113], v[18:19], v[88:89], -v[112:113]
	v_fma_f64 v[128:129], v[22:23], v[100:101], -v[128:129]
	ds_load_2addr_b64 v[16:19], v141 offset1:63
	ds_load_2addr_b64 v[20:23], v141 offset0:126 offset1:189
	v_fma_f64 v[72:73], v[106:107], v[96:97], v[98:99]
	v_fma_f64 v[70:71], v[126:127], v[88:89], v[90:91]
	v_add_f64_e64 v[88:89], v[110:111], -v[104:105]
	v_fma_f64 v[54:55], v[180:181], v[76:77], v[32:33]
	v_add_f64_e32 v[76:77], v[56:57], v[40:41]
	v_fma_f64 v[46:47], v[182:183], v[60:61], v[34:35]
	v_fma_f64 v[60:61], v[124:125], v[84:85], v[86:87]
	;; [unrolled: 1-line block ×3, first 2 shown]
	v_add_f64_e32 v[100:101], v[110:111], v[104:105]
	v_add_f64_e32 v[80:81], v[58:59], v[42:43]
	v_add3_u32 v156, 0, v27, v31
	ds_load_2addr_b64 v[31:34], v145 offset0:122 offset1:185
	v_add3_u32 v189, 0, v29, v137
	v_add_f64_e32 v[98:99], v[78:79], v[166:167]
	ds_load_2addr_b64 v[27:30], v149 offset0:124 offset1:187
	v_add_f64_e32 v[82:83], v[36:37], v[114:115]
	v_add_f64_e32 v[84:85], v[12:13], v[56:57]
	;; [unrolled: 1-line block ×3, first 2 shown]
	s_wait_dscnt 0x3
	v_add_f64_e32 v[106:107], v[16:17], v[110:111]
	v_add_f64_e32 v[110:111], v[92:93], v[64:65]
	;; [unrolled: 1-line block ×5, first 2 shown]
	v_add_f64_e64 v[56:57], v[56:57], -v[40:41]
	v_add_f64_e64 v[130:131], v[66:67], -v[68:69]
	s_wait_dscnt 0x2
	v_add_f64_e32 v[66:67], v[20:21], v[66:67]
	v_add_f64_e32 v[154:155], v[22:23], v[48:49]
	;; [unrolled: 1-line block ×4, first 2 shown]
	v_add_f64_e64 v[92:93], v[92:93], -v[64:65]
	v_add_f64_e32 v[172:173], v[6:7], v[78:79]
	v_add_f64_e64 v[58:59], v[58:59], -v[42:43]
	v_add_f64_e32 v[178:179], v[0:1], v[94:95]
	v_add_f64_e32 v[102:103], v[94:95], v[134:135]
	s_wait_dscnt 0x0
	v_add_f64_e32 v[186:187], v[29:30], v[44:45]
	v_add_f64_e32 v[184:185], v[2:3], v[112:113]
	;; [unrolled: 1-line block ×4, first 2 shown]
	v_add_f64_e64 v[35:36], v[36:37], -v[114:115]
	v_add_f64_e32 v[136:137], v[10:11], v[38:39]
	v_add_f64_e64 v[48:49], v[48:49], -v[50:51]
	v_add_f64_e32 v[174:175], v[52:53], v[54:55]
	v_fma_f64 v[12:13], v[76:77], -0.5, v[12:13]
	v_add_f64_e32 v[176:177], v[44:45], v[46:47]
	v_add_f64_e32 v[180:181], v[60:61], v[72:73]
	;; [unrolled: 1-line block ×3, first 2 shown]
	v_add_f64_e64 v[76:77], v[60:61], -v[72:73]
	v_add_f64_e32 v[60:61], v[31:32], v[60:61]
	v_fma_f64 v[16:17], v[100:101], -0.5, v[16:17]
	v_add_f64_e64 v[170:171], v[52:53], -v[54:55]
	v_add_f64_e32 v[52:53], v[27:28], v[52:53]
	v_add_f64_e64 v[44:45], v[44:45], -v[46:47]
	v_fma_f64 v[14:15], v[80:81], -0.5, v[14:15]
	v_add_f64_e32 v[80:81], v[33:34], v[70:71]
	v_add_f64_e64 v[70:71], v[70:71], -v[74:75]
	v_fma_f64 v[6:7], v[98:99], -0.5, v[6:7]
	v_fma_f64 v[8:9], v[82:83], -0.5, v[8:9]
	;; [unrolled: 1-line block ×5, first 2 shown]
	v_add_f64_e64 v[37:38], v[38:39], -v[157:158]
	v_fma_f64 v[22:23], v[152:153], -0.5, v[22:23]
	v_add_f64_e32 v[168:169], v[4:5], v[62:63]
	v_fma_f64 v[4:5], v[90:91], -0.5, v[4:5]
	v_add_f64_e64 v[62:63], v[62:63], -v[164:165]
	v_add_f64_e64 v[78:79], v[78:79], -v[166:167]
	v_add_f64_e64 v[82:83], v[94:95], -v[134:135]
	v_add_f64_e64 v[86:87], v[112:113], -v[128:129]
	v_add_f64_e32 v[39:40], v[84:85], v[40:41]
	v_add_f64_e32 v[66:67], v[66:67], v[68:69]
	;; [unrolled: 1-line block ×3, first 2 shown]
	v_fma_f64 v[0:1], v[102:103], -0.5, v[0:1]
	v_add_f64_e32 v[102:103], v[106:107], v[104:105]
	v_add_f64_e32 v[41:42], v[96:97], v[42:43]
	v_fma_f64 v[2:3], v[108:109], -0.5, v[2:3]
	v_add_f64_e32 v[64:65], v[124:125], v[64:65]
	v_add_f64_e32 v[84:85], v[126:127], v[114:115]
	;; [unrolled: 1-line block ×4, first 2 shown]
	v_fma_f64 v[27:28], v[174:175], -0.5, v[27:28]
	v_fma_f64 v[104:105], v[88:89], s[2:3], v[12:13]
	v_fma_f64 v[29:30], v[176:177], -0.5, v[29:30]
	v_fma_f64 v[31:32], v[180:181], -0.5, v[31:32]
	;; [unrolled: 1-line block ×3, first 2 shown]
	v_fma_f64 v[12:13], v[88:89], s[6:7], v[12:13]
	v_add_f64_e32 v[60:61], v[60:61], v[72:73]
	v_fma_f64 v[72:73], v[56:57], s[6:7], v[16:17]
	v_add_f64_e32 v[98:99], v[178:179], v[134:135]
	v_add_f64_e32 v[51:52], v[52:53], v[54:55]
	v_fma_f64 v[55:56], v[56:57], s[2:3], v[16:17]
	v_fma_f64 v[88:89], v[92:93], s[2:3], v[14:15]
	;; [unrolled: 1-line block ×3, first 2 shown]
	v_add_f64_e32 v[53:54], v[186:187], v[46:47]
	v_fma_f64 v[108:109], v[44:45], s[2:3], v[6:7]
	v_fma_f64 v[6:7], v[44:45], s[6:7], v[6:7]
	;; [unrolled: 1-line block ×9, first 2 shown]
	v_add_f64_e32 v[94:95], v[168:169], v[164:165]
	v_fma_f64 v[48:49], v[170:171], s[2:3], v[4:5]
	v_fma_f64 v[4:5], v[170:171], s[6:7], v[4:5]
	v_add_f64_e32 v[100:101], v[184:185], v[128:129]
	v_mul_lo_u16 v203, 0x48, v160
	v_sub_nc_u16 v25, v140, v209
	v_and_b32_e32 v26, 0xffff, v205
	v_fma_f64 v[43:44], v[76:77], s[2:3], v[0:1]
	v_fma_f64 v[0:1], v[76:77], s[6:7], v[0:1]
	v_sub_nc_u16 v24, v117, v203
	v_fma_f64 v[76:77], v[70:71], s[2:3], v[2:3]
	v_fma_f64 v[2:3], v[70:71], s[6:7], v[2:3]
	v_add_f64_e32 v[70:71], v[80:81], v[74:75]
	v_fma_f64 v[74:75], v[58:59], s[6:7], v[18:19]
	v_fma_f64 v[57:58], v[58:59], s[2:3], v[18:19]
	;; [unrolled: 1-line block ×11, first 2 shown]
	v_and_b32_e32 v24, 0xff, v24
	v_and_b32_e32 v25, 0xff, v25
	global_wb scope:SCOPE_SE
	s_barrier_signal -1
	s_barrier_wait -1
	global_inv scope:SCOPE_SE
	ds_store_2addr_b64 v202, v[39:40], v[104:105] offset1:24
	ds_store_b64 v202, v[12:13] offset:384
	ds_store_2addr_b64 v204, v[41:42], v[88:89] offset1:24
	ds_store_b64 v204, v[14:15] offset:384
	;; [unrolled: 2-line block ×8, first 2 shown]
	global_wb scope:SCOPE_SE
	s_wait_dscnt 0x0
	s_barrier_signal -1
	s_barrier_wait -1
	global_inv scope:SCOPE_SE
	ds_load_2addr_b64 v[0:3], v141 offset1:63
	ds_load_2addr_b64 v[4:7], v123 offset0:120 offset1:183
	ds_load_2addr_b64 v[8:11], v146 offset0:112 offset1:175
	;; [unrolled: 1-line block ×11, first 2 shown]
	global_wb scope:SCOPE_SE
	s_wait_dscnt 0x0
	s_barrier_signal -1
	s_barrier_wait -1
	global_inv scope:SCOPE_SE
	ds_store_2addr_b64 v202, v[102:103], v[72:73] offset1:24
	ds_store_b64 v202, v[55:56] offset:384
	ds_store_2addr_b64 v204, v[64:65], v[74:75] offset1:24
	ds_store_b64 v204, v[57:58] offset:384
	;; [unrolled: 2-line block ×8, first 2 shown]
	v_lshlrev_b32_e32 v55, 5, v24
	v_and_b32_e32 v156, 0xffff, v206
	global_wb scope:SCOPE_SE
	s_wait_dscnt 0x0
	s_barrier_signal -1
	s_barrier_wait -1
	global_inv scope:SCOPE_SE
	s_clause 0x1
	global_load_b128 v[51:54], v[132:133], off offset:1120
	global_load_b128 v[60:63], v[120:121], off offset:1120
	v_lshlrev_b32_e32 v56, 5, v25
	s_clause 0x1
	global_load_b128 v[64:67], v[132:133], off offset:1136
	global_load_b128 v[68:71], v[120:121], off offset:1136
	v_lshlrev_b32_e32 v57, 5, v26
	v_and_b32_e32 v157, 0xffff, v207
	s_clause 0x1
	global_load_b128 v[104:107], v55, s[4:5] offset:1120
	global_load_b128 v[108:111], v56, s[4:5] offset:1120
	v_lshlrev_b32_e32 v58, 5, v156
	s_clause 0x1
	global_load_b128 v[124:127], v55, s[4:5] offset:1136
	global_load_b128 v[128:131], v56, s[4:5] offset:1136
	v_and_b32_e32 v158, 0xffff, v208
	s_clause 0x1
	global_load_b128 v[132:135], v57, s[4:5] offset:1120
	global_load_b128 v[136:139], v58, s[4:5] offset:1120
	v_lshlrev_b32_e32 v55, 5, v157
	v_lshlrev_b32_e32 v56, 5, v158
	s_clause 0x5
	global_load_b128 v[152:155], v57, s[4:5] offset:1136
	global_load_b128 v[164:167], v58, s[4:5] offset:1136
	;; [unrolled: 1-line block ×6, first 2 shown]
	ds_load_2addr_b64 v[112:115], v123 offset0:120 offset1:183
	ds_load_2addr_b64 v[184:187], v146 offset0:112 offset1:175
	;; [unrolled: 1-line block ×8, first 2 shown]
	s_wait_loadcnt_dscnt 0xf07
	v_mul_f64_e32 v[55:56], v[112:113], v[53:54]
	s_wait_loadcnt 0xe
	v_mul_f64_e32 v[57:58], v[114:115], v[62:63]
	s_wait_loadcnt_dscnt 0xd06
	v_mul_f64_e32 v[72:73], v[184:185], v[66:67]
	s_wait_loadcnt 0xc
	v_mul_f64_e32 v[74:75], v[186:187], v[70:71]
	v_mul_f64_e32 v[53:54], v[4:5], v[53:54]
	s_wait_loadcnt_dscnt 0xb05
	v_mul_f64_e32 v[78:79], v[188:189], v[106:107]
	s_wait_loadcnt 0xa
	v_mul_f64_e32 v[80:81], v[190:191], v[110:111]
	s_wait_loadcnt_dscnt 0x904
	v_mul_f64_e32 v[82:83], v[192:193], v[126:127]
	s_wait_loadcnt 0x8
	v_mul_f64_e32 v[84:85], v[194:195], v[130:131]
	v_mul_f64_e32 v[66:67], v[8:9], v[66:67]
	s_wait_loadcnt_dscnt 0x703
	v_mul_f64_e32 v[88:89], v[196:197], v[134:135]
	s_wait_loadcnt_dscnt 0x502
	v_mul_f64_e32 v[92:93], v[200:201], v[154:155]
	v_mul_f64_e32 v[90:91], v[198:199], v[138:139]
	s_wait_loadcnt 0x4
	v_mul_f64_e32 v[96:97], v[202:203], v[166:167]
	s_wait_loadcnt_dscnt 0x301
	v_mul_f64_e32 v[98:99], v[204:205], v[170:171]
	s_wait_loadcnt_dscnt 0x200
	v_mul_f64_e32 v[100:101], v[208:209], v[174:175]
	s_wait_loadcnt 0x1
	v_mul_f64_e32 v[120:121], v[206:207], v[178:179]
	s_wait_loadcnt 0x0
	v_mul_f64_e32 v[122:123], v[210:211], v[182:183]
	v_mul_f64_e32 v[62:63], v[6:7], v[62:63]
	;; [unrolled: 1-line block ×4, first 2 shown]
	v_fma_f64 v[76:77], v[4:5], v[51:52], -v[55:56]
	v_mul_f64_e32 v[4:5], v[18:19], v[110:111]
	v_fma_f64 v[86:87], v[8:9], v[64:65], -v[72:73]
	v_fma_f64 v[56:57], v[6:7], v[60:61], -v[57:58]
	v_mul_f64_e32 v[6:7], v[20:21], v[126:127]
	v_fma_f64 v[58:59], v[10:11], v[68:69], -v[74:75]
	v_mul_f64_e32 v[8:9], v[22:23], v[130:131]
	v_fma_f64 v[74:75], v[16:17], v[104:105], -v[78:79]
	v_fma_f64 v[82:83], v[20:21], v[124:125], -v[82:83]
	v_mul_f64_e32 v[10:11], v[31:32], v[134:135]
	v_fma_f64 v[72:73], v[18:19], v[108:109], -v[80:81]
	v_fma_f64 v[78:79], v[22:23], v[128:129], -v[84:85]
	v_mul_f64_e32 v[16:17], v[33:34], v[138:139]
	v_mul_f64_e32 v[18:19], v[35:36], v[154:155]
	v_fma_f64 v[84:85], v[31:32], v[132:133], -v[88:89]
	v_fma_f64 v[94:95], v[35:36], v[152:153], -v[92:93]
	v_mul_f64_e32 v[20:21], v[37:38], v[166:167]
	v_fma_f64 v[80:81], v[33:34], v[136:137], -v[90:91]
	v_fma_f64 v[88:89], v[37:38], v[164:165], -v[96:97]
	v_mul_f64_e32 v[22:23], v[43:44], v[170:171]
	v_mul_f64_e32 v[33:34], v[47:48], v[174:175]
	v_fma_f64 v[96:97], v[43:44], v[168:169], -v[98:99]
	v_fma_f64 v[102:103], v[47:48], v[172:173], -v[100:101]
	v_mul_f64_e32 v[31:32], v[45:46], v[178:179]
	v_mul_f64_e32 v[35:36], v[49:50], v[182:183]
	v_fma_f64 v[90:91], v[45:46], v[176:177], -v[120:121]
	v_fma_f64 v[98:99], v[49:50], v[180:181], -v[122:123]
	v_fma_f64 v[112:113], v[112:113], v[51:52], v[53:54]
	v_fma_f64 v[92:93], v[184:185], v[64:65], v[66:67]
	v_fma_f64 v[114:115], v[114:115], v[60:61], v[62:63]
	v_fma_f64 v[100:101], v[186:187], v[68:69], v[70:71]
	v_fma_f64 v[120:121], v[188:189], v[104:105], v[106:107]
	v_and_b32_e32 v55, 0xffff, v160
	v_mul_u32_u24_e32 v155, 0x6c0, v159
	v_fma_f64 v[122:123], v[190:191], v[108:109], v[4:5]
	v_add_f64_e32 v[4:5], v[76:77], v[86:87]
	v_and_b32_e32 v108, 0xffff, v161
	v_fma_f64 v[106:107], v[192:193], v[124:125], v[6:7]
	v_add_f64_e32 v[6:7], v[56:57], v[58:59]
	v_fma_f64 v[110:111], v[194:195], v[128:129], v[8:9]
	v_add_f64_e32 v[37:38], v[12:13], v[74:75]
	v_add_f64_e32 v[8:9], v[74:75], v[82:83]
	v_fma_f64 v[124:125], v[196:197], v[132:133], v[10:11]
	v_add_f64_e32 v[43:44], v[14:15], v[72:73]
	v_add_f64_e32 v[10:11], v[72:73], v[78:79]
	v_fma_f64 v[128:129], v[198:199], v[136:137], v[16:17]
	v_fma_f64 v[126:127], v[200:201], v[152:153], v[18:19]
	v_add_f64_e32 v[45:46], v[27:28], v[84:85]
	v_add_f64_e32 v[16:17], v[84:85], v[94:95]
	v_fma_f64 v[130:131], v[202:203], v[164:165], v[20:21]
	v_add_f64_e32 v[47:48], v[29:30], v[80:81]
	v_add_f64_e32 v[18:19], v[80:81], v[88:89]
	v_fma_f64 v[132:133], v[204:205], v[168:169], v[22:23]
	v_fma_f64 v[134:135], v[208:209], v[172:173], v[33:34]
	v_add_f64_e32 v[49:50], v[39:40], v[96:97]
	v_add_f64_e32 v[20:21], v[96:97], v[102:103]
	v_fma_f64 v[136:137], v[206:207], v[176:177], v[31:32]
	v_fma_f64 v[138:139], v[210:211], v[180:181], v[35:36]
	v_add_f64_e32 v[31:32], v[0:1], v[76:77]
	v_add_f64_e32 v[22:23], v[90:91], v[98:99]
	;; [unrolled: 1-line block ×3, first 2 shown]
	v_add_f64_e64 v[33:34], v[112:113], -v[92:93]
	v_add_f64_e32 v[35:36], v[2:3], v[56:57]
	v_add_f64_e64 v[53:54], v[114:115], -v[100:101]
	v_mul_u32_u24_e32 v109, 0x6c0, v162
	v_mul_u32_u24_e32 v153, 0x6c0, v163
	v_lshl_add_u32 v152, v158, 3, 0
	v_fma_f64 v[4:5], v[4:5], -0.5, v[0:1]
	s_wait_alu 0xf1ff
	v_cndmask_b32_e64 v0, 0, 0x6c0, s0
	v_lshlrev_b32_e32 v1, 3, v151
	v_fma_f64 v[2:3], v[6:7], -0.5, v[2:3]
	v_add_f64_e64 v[6:7], v[120:121], -v[106:107]
	v_add_f64_e32 v[60:61], v[37:38], v[82:83]
	v_fma_f64 v[8:9], v[8:9], -0.5, v[12:13]
	v_add_f64_e64 v[12:13], v[122:123], -v[110:111]
	v_add3_u32 v151, 0, v0, v1
	v_fma_f64 v[10:11], v[10:11], -0.5, v[14:15]
	v_add_f64_e32 v[43:44], v[43:44], v[78:79]
	v_add_f64_e64 v[14:15], v[124:125], -v[126:127]
	v_add_f64_e32 v[45:46], v[45:46], v[94:95]
	v_fma_f64 v[16:17], v[16:17], -0.5, v[27:28]
	v_add_f64_e64 v[27:28], v[128:129], -v[130:131]
	v_add_f64_e32 v[47:48], v[47:48], v[88:89]
	v_fma_f64 v[18:19], v[18:19], -0.5, v[29:30]
	v_cmp_gt_u32_e64 s0, 27, v116
	v_add_f64_e64 v[29:30], v[132:133], -v[134:135]
	v_add_f64_e32 v[49:50], v[49:50], v[102:103]
	v_fma_f64 v[20:21], v[20:21], -0.5, v[39:40]
	v_add_f64_e64 v[39:40], v[136:137], -v[138:139]
	v_add_f64_e32 v[31:32], v[31:32], v[86:87]
	v_fma_f64 v[22:23], v[22:23], -0.5, v[41:42]
	v_add_f64_e32 v[0:1], v[51:52], v[98:99]
	v_add_f64_e32 v[41:42], v[35:36], v[58:59]
	v_fma_f64 v[51:52], v[33:34], s[2:3], v[4:5]
	v_fma_f64 v[33:34], v[33:34], s[6:7], v[4:5]
	;; [unrolled: 1-line block ×8, first 2 shown]
	v_mul_u32_u24_e32 v12, 0x6c0, v55
	v_mul_u32_u24_e32 v13, 0x6c0, v108
	v_fma_f64 v[66:67], v[14:15], s[2:3], v[16:17]
	v_fma_f64 v[68:69], v[14:15], s[6:7], v[16:17]
	v_lshlrev_b32_e32 v14, 3, v24
	v_fma_f64 v[70:71], v[27:28], s[2:3], v[18:19]
	v_fma_f64 v[27:28], v[27:28], s[6:7], v[18:19]
	v_lshlrev_b32_e32 v15, 3, v25
	v_lshlrev_b32_e32 v16, 3, v26
	v_fma_f64 v[104:105], v[29:30], s[2:3], v[20:21]
	v_fma_f64 v[29:30], v[29:30], s[6:7], v[20:21]
	v_lshlrev_b32_e32 v17, 3, v156
	v_lshlrev_b32_e32 v18, 3, v157
	v_fma_f64 v[2:3], v[39:40], s[2:3], v[22:23]
	v_fma_f64 v[4:5], v[39:40], s[6:7], v[22:23]
	v_add3_u32 v158, 0, v12, v14
	v_add3_u32 v157, 0, v13, v15
	;; [unrolled: 1-line block ×5, first 2 shown]
	v_add_nc_u32_e32 v155, 0x2800, v152
	ds_load_2addr_b64 v[36:39], v141 offset1:63
	ds_load_2addr_b64 v[20:23], v141 offset0:126 offset1:189
	ds_load_2addr_b64 v[16:19], v149 offset0:124 offset1:187
	;; [unrolled: 1-line block ×3, first 2 shown]
	global_wb scope:SCOPE_SE
	s_wait_dscnt 0x0
	s_barrier_signal -1
	s_barrier_wait -1
	global_inv scope:SCOPE_SE
	ds_store_2addr_b64 v141, v[31:32], v[51:52] offset1:72
	ds_store_b64 v141, v[33:34] offset:1152
	ds_store_2addr_b64 v151, v[41:42], v[62:63] offset1:72
	ds_store_b64 v151, v[53:54] offset:1152
	ds_store_2addr_b64 v158, v[60:61], v[64:65] offset1:72
	ds_store_b64 v158, v[6:7] offset:1152
	ds_store_2addr_b64 v157, v[43:44], v[8:9] offset1:72
	ds_store_b64 v157, v[10:11] offset:1152
	ds_store_2addr_b64 v156, v[45:46], v[66:67] offset1:72
	ds_store_b64 v156, v[68:69] offset:1152
	ds_store_2addr_b64 v154, v[47:48], v[70:71] offset1:72
	ds_store_b64 v154, v[27:28] offset:1152
	ds_store_2addr_b64 v153, v[49:50], v[104:105] offset1:72
	ds_store_b64 v153, v[29:30] offset:1152
	ds_store_2addr_b64 v155, v[0:1], v[2:3] offset0:16 offset1:88
	ds_store_b64 v152, v[4:5] offset:11520
	global_wb scope:SCOPE_SE
	s_wait_dscnt 0x0
	s_barrier_signal -1
	s_barrier_wait -1
	global_inv scope:SCOPE_SE
	ds_load_2addr_b64 v[28:31], v141 offset1:63
	ds_load_b64 v[108:109], v141 offset:11376
	ds_load_2addr_b64 v[24:27], v141 offset0:126 offset1:216
	ds_load_2addr_b64 v[48:51], v145 offset0:176 offset1:239
	;; [unrolled: 1-line block ×9, first 2 shown]
                                        ; implicit-def: $vgpr104_vgpr105
                                        ; implicit-def: $vgpr10_vgpr11
	s_and_saveexec_b32 s1, s0
	s_cbranch_execz .LBB0_13
; %bb.12:
	v_add_nc_u32_e32 v0, 0x500, v141
	v_add_nc_u32_e32 v4, 0x1300, v141
	ds_load_2addr_b64 v[8:11], v144 offset0:29 offset1:245
	ds_load_2addr_b64 v[0:3], v0 offset0:29 offset1:245
	;; [unrolled: 1-line block ×3, first 2 shown]
	ds_load_b64 v[104:105], v141 offset:11880
.LBB0_13:
	s_wait_alu 0xfffe
	s_or_b32 exec_lo, exec_lo, s1
	v_add_f64_e32 v[159:160], v[112:113], v[92:93]
	v_add_f64_e32 v[161:162], v[114:115], v[100:101]
	;; [unrolled: 1-line block ×9, first 2 shown]
	v_add_f64_e64 v[76:77], v[76:77], -v[86:87]
	v_add_f64_e32 v[86:87], v[38:39], v[114:115]
	v_add_f64_e64 v[56:57], v[56:57], -v[58:59]
	v_add_f64_e32 v[114:115], v[20:21], v[120:121]
	;; [unrolled: 2-line block ×7, first 2 shown]
	v_add_f64_e64 v[84:85], v[90:91], -v[98:99]
	global_wb scope:SCOPE_SE
	s_wait_dscnt 0x0
	s_barrier_signal -1
	s_barrier_wait -1
	global_inv scope:SCOPE_SE
	v_fma_f64 v[36:37], v[159:160], -0.5, v[36:37]
	v_fma_f64 v[38:39], v[161:162], -0.5, v[38:39]
	;; [unrolled: 1-line block ×8, first 2 shown]
	v_add_f64_e32 v[90:91], v[112:113], v[92:93]
	v_add_f64_e32 v[86:87], v[86:87], v[100:101]
	;; [unrolled: 1-line block ×8, first 2 shown]
	v_fma_f64 v[102:103], v[76:77], s[6:7], v[36:37]
	v_fma_f64 v[36:37], v[76:77], s[2:3], v[36:37]
	;; [unrolled: 1-line block ×16, first 2 shown]
	ds_store_2addr_b64 v141, v[90:91], v[102:103] offset1:72
	ds_store_b64 v141, v[36:37] offset:1152
	ds_store_2addr_b64 v151, v[86:87], v[76:77] offset1:72
	ds_store_b64 v151, v[38:39] offset:1152
	;; [unrolled: 2-line block ×7, first 2 shown]
	ds_store_2addr_b64 v155, v[12:13], v[14:15] offset0:16 offset1:88
	ds_store_b64 v152, v[16:17] offset:11520
	global_wb scope:SCOPE_SE
	s_wait_dscnt 0x0
	s_barrier_signal -1
	s_barrier_wait -1
	global_inv scope:SCOPE_SE
	ds_load_2addr_b64 v[36:39], v141 offset1:63
	ds_load_2addr_b64 v[56:59], v141 offset0:126 offset1:216
	ds_load_2addr_b64 v[88:91], v145 offset0:176 offset1:239
	;; [unrolled: 1-line block ×9, first 2 shown]
	ds_load_b64 v[112:113], v141 offset:11376
                                        ; implicit-def: $vgpr106_vgpr107
                                        ; implicit-def: $vgpr22_vgpr23
	s_and_saveexec_b32 s1, s0
	s_cbranch_execz .LBB0_15
; %bb.14:
	v_add_nc_u32_e32 v12, 0x500, v141
	v_add_nc_u32_e32 v16, 0x1300, v141
	;; [unrolled: 1-line block ×3, first 2 shown]
	ds_load_2addr_b64 v[12:15], v12 offset0:29 offset1:245
	ds_load_2addr_b64 v[16:19], v16 offset0:13 offset1:229
	;; [unrolled: 1-line block ×3, first 2 shown]
	ds_load_b64 v[106:107], v141 offset:11880
.LBB0_15:
	s_wait_alu 0xfffe
	s_or_b32 exec_lo, exec_lo, s1
	s_and_saveexec_b32 s1, vcc_lo
	s_cbranch_execz .LBB0_18
; %bb.16:
	v_mul_u32_u24_e32 v110, 6, v117
	v_mov_b32_e32 v111, 0
	s_mov_b32 s12, 0xe976ee23
	s_mov_b32 s20, 0x37e14327
	;; [unrolled: 1-line block ×3, first 2 shown]
	v_lshlrev_b32_e32 v149, 4, v110
	v_mul_u32_u24_e32 v110, 6, v116
	s_mov_b32 s18, 0x429ad128
	s_mov_b32 s13, 0xbfe11646
	;; [unrolled: 1-line block ×3, first 2 shown]
	global_load_b128 v[120:123], v149, s[4:5] offset:3504
	v_lshlrev_b32_e32 v183, 4, v110
	v_mad_u32_u24 v110, v117, 6, 0xfffffe86
	s_mov_b32 s15, 0x3fac98ee
	s_mov_b32 s19, 0x3febfeb5
	;; [unrolled: 1-line block ×3, first 2 shown]
	global_load_b128 v[124:127], v183, s[4:5] offset:3504
	v_lshlrev_b64_e32 v[114:115], 4, v[110:111]
	s_clause 0x5
	global_load_b128 v[128:131], v149, s[4:5] offset:3424
	global_load_b128 v[132:135], v183, s[4:5] offset:3424
	;; [unrolled: 1-line block ×6, first 2 shown]
	s_mov_b32 s10, 0xaaaaaaaa
	s_mov_b32 s24, 0x5476071b
	;; [unrolled: 1-line block ×3, first 2 shown]
	v_add_co_u32 v114, vcc_lo, s4, v114
	s_wait_alu 0xfffd
	v_add_co_ci_u32_e32 v115, vcc_lo, s5, v115, vcc_lo
	s_clause 0x9
	global_load_b128 v[155:158], v149, s[4:5] offset:3472
	global_load_b128 v[159:162], v149, s[4:5] offset:3456
	global_load_b128 v[163:166], v[114:115], off offset:3504
	global_load_b128 v[167:170], v[114:115], off offset:3424
	global_load_b128 v[171:174], v[114:115], off offset:3440
	global_load_b128 v[175:178], v[114:115], off offset:3488
	global_load_b128 v[179:182], v183, s[4:5] offset:3472
	global_load_b128 v[183:186], v183, s[4:5] offset:3456
	global_load_b128 v[187:190], v[114:115], off offset:3472
	global_load_b128 v[191:194], v[114:115], off offset:3456
	s_mov_b32 s11, 0xbff2aaaa
	s_mov_b32 s17, 0xbfd5d0dc
	;; [unrolled: 1-line block ×4, first 2 shown]
	s_wait_alu 0xfffe
	s_mov_b32 s16, s6
	s_mov_b32 s22, s24
	;; [unrolled: 1-line block ×4, first 2 shown]
	v_mul_hi_u32 v110, 0x97b425f, v150
	v_mov_b32_e32 v117, v111
	s_delay_alu instid0(VALU_DEP_2)
	v_mul_u32_u24_e32 v110, 0x510, v110
	s_wait_loadcnt_dscnt 0x1100
	v_mul_f64_e32 v[114:115], v[112:113], v[122:123]
	v_mul_f64_e32 v[122:123], v[108:109], v[122:123]
	s_wait_loadcnt 0xd
	v_mul_f64_e32 v[201:202], v[54:55], v[138:139]
	v_mul_f64_e32 v[195:196], v[100:101], v[126:127]
	;; [unrolled: 1-line block ×7, first 2 shown]
	s_wait_loadcnt 0xc
	v_mul_f64_e32 v[203:204], v[44:45], v[143:144]
	s_wait_loadcnt 0xb
	v_mul_f64_e32 v[205:206], v[86:87], v[147:148]
	v_mul_f64_e32 v[147:148], v[70:71], v[147:148]
	s_wait_loadcnt 0xa
	v_mul_f64_e32 v[207:208], v[48:49], v[153:154]
	v_mul_f64_e32 v[153:154], v[88:89], v[153:154]
	s_wait_loadcnt 0x7
	v_mul_f64_e32 v[213:214], v[102:103], v[165:166]
	v_mul_f64_e32 v[165:166], v[66:67], v[165:166]
	s_wait_loadcnt 0x6
	v_mul_f64_e32 v[215:216], v[92:93], v[169:170]
	s_wait_loadcnt 0x5
	v_mul_f64_e32 v[217:218], v[90:91], v[173:174]
	v_mul_f64_e32 v[169:170], v[60:61], v[169:170]
	s_wait_loadcnt 0x4
	v_mul_f64_e32 v[219:220], v[52:53], v[177:178]
	v_mul_f64_e32 v[138:139], v[98:99], v[138:139]
	;; [unrolled: 1-line block ×6, first 2 shown]
	v_fma_f64 v[108:109], v[108:109], v[120:121], -v[114:115]
	v_mul_f64_e32 v[114:115], v[50:51], v[173:174]
	v_fma_f64 v[112:113], v[112:113], v[120:121], v[122:123]
	v_mul_f64_e32 v[120:121], v[96:97], v[177:178]
	v_mul_f64_e32 v[122:123], v[42:43], v[161:162]
	v_fma_f64 v[98:99], v[98:99], v[136:137], v[201:202]
	v_fma_f64 v[64:65], v[64:65], v[124:125], -v[195:196]
	v_fma_f64 v[100:101], v[100:101], v[124:125], v[126:127]
	s_wait_loadcnt 0x3
	v_mul_f64_e32 v[124:125], v[72:73], v[181:182]
	s_wait_loadcnt 0x2
	v_mul_f64_e32 v[126:127], v[82:83], v[185:186]
	v_fma_f64 v[62:63], v[62:63], v[128:129], -v[197:198]
	v_fma_f64 v[94:95], v[94:95], v[128:129], v[130:131]
	v_mul_f64_e32 v[128:129], v[46:47], v[185:186]
	v_mul_f64_e32 v[130:131], v[32:33], v[181:182]
	v_fma_f64 v[26:27], v[26:27], v[132:133], -v[199:200]
	v_fma_f64 v[58:59], v[58:59], v[132:133], v[134:135]
	v_fma_f64 v[80:81], v[80:81], v[141:142], v[203:204]
	v_fma_f64 v[70:71], v[70:71], v[145:146], -v[205:206]
	v_fma_f64 v[86:87], v[86:87], v[145:146], v[147:148]
	v_fma_f64 v[88:89], v[88:89], v[151:152], v[207:208]
	v_fma_f64 v[48:49], v[48:49], v[151:152], -v[153:154]
	s_wait_loadcnt 0x1
	v_mul_f64_e32 v[132:133], v[74:75], v[189:190]
	s_wait_loadcnt 0x0
	v_mul_f64_e32 v[134:135], v[76:77], v[193:194]
	v_mul_f64_e32 v[145:146], v[40:41], v[193:194]
	;; [unrolled: 1-line block ×3, first 2 shown]
	v_fma_f64 v[66:67], v[66:67], v[163:164], -v[213:214]
	v_fma_f64 v[102:103], v[102:103], v[163:164], v[165:166]
	v_fma_f64 v[60:61], v[60:61], v[167:168], -v[215:216]
	v_fma_f64 v[92:93], v[92:93], v[167:168], v[169:170]
	v_fma_f64 v[96:97], v[96:97], v[175:176], v[219:220]
	v_fma_f64 v[50:51], v[50:51], v[171:172], -v[217:218]
	v_fma_f64 v[54:55], v[54:55], v[136:137], -v[138:139]
	;; [unrolled: 1-line block ×5, first 2 shown]
	v_fma_f64 v[84:85], v[84:85], v[155:156], v[157:158]
	v_fma_f64 v[90:91], v[90:91], v[171:172], v[114:115]
	v_fma_f64 v[52:53], v[52:53], v[175:176], -v[120:121]
	v_fma_f64 v[78:79], v[78:79], v[159:160], v[122:123]
	v_fma_f64 v[32:33], v[32:33], v[179:180], -v[124:125]
	v_fma_f64 v[46:47], v[46:47], v[183:184], -v[126:127]
	v_add_f64_e32 v[114:115], v[94:95], v[112:113]
	v_fma_f64 v[82:83], v[82:83], v[183:184], v[128:129]
	v_fma_f64 v[72:73], v[72:73], v[179:180], v[130:131]
	v_add_f64_e32 v[126:127], v[26:27], v[64:65]
	v_add_f64_e32 v[122:123], v[58:59], v[100:101]
	;; [unrolled: 1-line block ×3, first 2 shown]
	v_add_f64_e64 v[130:131], v[62:63], -v[108:109]
	v_add_f64_e32 v[62:63], v[62:63], v[108:109]
	v_add_f64_e32 v[124:125], v[88:89], v[86:87]
	v_add_f64_e32 v[128:129], v[48:49], v[70:71]
	v_fma_f64 v[34:35], v[34:35], v[187:188], -v[132:133]
	v_fma_f64 v[40:41], v[40:41], v[191:192], -v[134:135]
	v_fma_f64 v[76:77], v[76:77], v[191:192], v[145:146]
	v_fma_f64 v[74:75], v[74:75], v[187:188], v[147:148]
	v_add_f64_e64 v[48:49], v[48:49], -v[70:71]
	v_add_f64_e64 v[64:65], v[26:27], -v[64:65]
	v_add_f64_e32 v[138:139], v[60:61], v[66:67]
	v_add_f64_e32 v[134:135], v[92:93], v[102:103]
	v_add_f64_e64 v[58:59], v[58:59], -v[100:101]
	v_add_f64_e64 v[60:61], v[60:61], -v[66:67]
	;; [unrolled: 1-line block ×4, first 2 shown]
	v_add_f64_e32 v[44:45], v[44:45], v[54:55]
	v_add_f64_e64 v[132:133], v[68:69], -v[42:43]
	v_add_f64_e32 v[42:43], v[68:69], v[42:43]
	v_add_f64_e64 v[54:55], v[94:95], -v[112:113]
	v_add_f64_e32 v[136:137], v[90:91], v[96:97]
	v_add_f64_e32 v[141:142], v[50:51], v[52:53]
	;; [unrolled: 1-line block ×3, first 2 shown]
	v_add_f64_e64 v[68:69], v[84:85], -v[78:79]
	v_add_f64_e64 v[78:79], v[80:81], -v[98:99]
	;; [unrolled: 1-line block ×4, first 2 shown]
	v_add_f64_e32 v[32:33], v[32:33], v[46:47]
	v_add_f64_e32 v[70:71], v[72:73], v[82:83]
	v_add_f64_e64 v[46:47], v[72:73], -v[82:83]
	v_add_f64_e64 v[72:73], v[88:89], -v[86:87]
	v_add_f64_e32 v[26:27], v[114:115], v[120:121]
	v_add_f64_e32 v[82:83], v[122:123], v[124:125]
	;; [unrolled: 1-line block ×3, first 2 shown]
	v_add_f64_e64 v[86:87], v[34:35], -v[40:41]
	v_add_f64_e32 v[34:35], v[34:35], v[40:41]
	v_add_f64_e32 v[52:53], v[74:75], v[76:77]
	v_add_f64_e64 v[40:41], v[74:75], -v[76:77]
	v_add_f64_e64 v[74:75], v[90:91], -v[96:97]
	;; [unrolled: 1-line block ×3, first 2 shown]
	v_add_f64_e32 v[100:101], v[62:63], v[44:45]
	v_add_f64_e64 v[92:93], v[132:133], -v[143:144]
	v_add_f64_e32 v[94:95], v[132:133], v[143:144]
	v_add_f64_e64 v[102:103], v[62:63], -v[42:43]
	v_add_f64_e64 v[108:109], v[42:43], -v[44:45]
	v_add_f64_e32 v[88:89], v[134:135], v[136:137]
	v_add_f64_e64 v[143:144], v[143:144], -v[130:131]
	v_add_f64_e32 v[90:91], v[138:139], v[141:142]
	v_add_f64_e64 v[96:97], v[114:115], -v[145:146]
	v_add_f64_e64 v[98:99], v[145:146], -v[120:121]
	;; [unrolled: 1-line block ×14, first 2 shown]
	v_add_f64_e32 v[145:146], v[145:146], v[26:27]
	v_add_f64_e32 v[48:49], v[80:81], v[48:49]
	;; [unrolled: 1-line block ×4, first 2 shown]
	v_add_f64_e64 v[80:81], v[58:59], -v[46:47]
	v_add_f64_e64 v[26:27], v[86:87], -v[50:51]
	v_add_f64_e64 v[163:164], v[34:35], -v[141:142]
	v_add_f64_e64 v[84:85], v[52:53], -v[136:137]
	v_add_f64_e32 v[46:47], v[46:47], v[72:73]
	v_add_f64_e64 v[165:166], v[40:41], -v[74:75]
	v_add_f64_e64 v[169:170], v[74:75], -v[66:67]
	;; [unrolled: 1-line block ×6, first 2 shown]
	v_add_f64_e32 v[68:69], v[68:69], v[78:79]
	v_add_f64_e32 v[42:43], v[42:43], v[100:101]
	v_add_f64_e64 v[78:79], v[78:79], -v[54:55]
	v_add_f64_e64 v[124:125], v[128:129], -v[126:127]
	;; [unrolled: 1-line block ×3, first 2 shown]
	v_add_f64_e32 v[50:51], v[86:87], v[50:51]
	v_add_f64_e32 v[88:89], v[52:53], v[88:89]
	v_add_f64_e64 v[52:53], v[134:135], -v[52:53]
	v_add_f64_e32 v[90:91], v[34:35], v[90:91]
	v_add_f64_e32 v[74:75], v[40:41], v[74:75]
	v_mul_f64_e32 v[86:87], s[12:13], v[92:93]
	v_mul_f64_e32 v[92:93], s[14:15], v[98:99]
	;; [unrolled: 1-line block ×4, first 2 shown]
	v_add_f64_e64 v[128:129], v[136:137], -v[134:135]
	v_mul_f64_e32 v[62:63], s[12:13], v[62:63]
	v_mul_f64_e32 v[134:135], s[14:15], v[147:148]
	;; [unrolled: 1-line block ×5, first 2 shown]
	v_add_f64_e64 v[40:41], v[66:67], -v[40:41]
	v_mul_f64_e32 v[136:137], s[12:13], v[151:152]
	v_mul_f64_e32 v[151:152], s[18:19], v[155:156]
	v_add_f64_e32 v[32:33], v[56:57], v[145:146]
	v_mul_f64_e32 v[56:57], s[20:21], v[157:158]
	v_add_f64_e32 v[36:37], v[36:37], v[70:71]
	v_add_f64_e32 v[34:35], v[28:29], v[82:83]
	v_add_f64_e64 v[138:139], v[141:142], -v[138:139]
	v_mul_f64_e32 v[141:142], s[12:13], v[26:27]
	v_mul_f64_e32 v[163:164], s[14:15], v[163:164]
	;; [unrolled: 1-line block ×9, first 2 shown]
	v_add_f64_e32 v[94:95], v[130:131], v[94:95]
	v_mul_f64_e32 v[130:131], s[20:21], v[102:103]
	v_add_f64_e32 v[48:49], v[64:65], v[48:49]
	v_mul_f64_e32 v[177:178], s[18:19], v[78:79]
	v_add_f64_e32 v[46:47], v[58:59], v[46:47]
	v_add_f64_e32 v[54:55], v[54:55], v[68:69]
	;; [unrolled: 1-line block ×4, first 2 shown]
	v_mul_f64_e32 v[38:39], s[20:21], v[52:53]
	v_add_f64_e32 v[26:27], v[30:31], v[90:91]
	v_add_f64_e32 v[30:31], v[24:25], v[42:43]
	;; [unrolled: 1-line block ×3, first 2 shown]
	v_fma_f64 v[60:61], v[76:77], s[6:7], v[86:87]
	v_fma_f64 v[64:65], v[96:97], s[20:21], v[92:93]
	v_fma_f64 v[24:25], v[76:77], s[16:17], -v[98:99]
	v_fma_f64 v[66:67], v[114:115], s[24:25], -v[100:101]
	s_wait_alu 0xfffe
	v_fma_f64 v[74:75], v[114:115], s[22:23], -v[92:93]
	v_fma_f64 v[76:77], v[143:144], s[18:19], -v[86:87]
	v_fma_f64 v[86:87], v[161:162], s[6:7], v[62:63]
	v_fma_f64 v[96:97], v[159:160], s[20:21], v[134:135]
	;; [unrolled: 1-line block ×3, first 2 shown]
	v_fma_f64 v[100:101], v[161:162], s[16:17], -v[147:148]
	v_fma_f64 v[98:99], v[80:81], s[6:7], v[136:137]
	v_fma_f64 v[80:81], v[80:81], s[16:17], -v[151:152]
	v_fma_f64 v[114:115], v[145:146], s[10:11], v[32:33]
	v_fma_f64 v[56:57], v[72:73], s[24:25], -v[56:57]
	v_fma_f64 v[143:144], v[124:125], s[24:25], -v[171:172]
	;; [unrolled: 1-line block ×3, first 2 shown]
	v_fma_f64 v[70:71], v[70:71], s[10:11], v[36:37]
	v_fma_f64 v[82:83], v[82:83], s[10:11], v[34:35]
	v_fma_f64 v[72:73], v[72:73], s[22:23], -v[120:121]
	v_fma_f64 v[136:137], v[155:156], s[18:19], -v[136:137]
	;; [unrolled: 1-line block ×3, first 2 shown]
	v_fma_f64 v[124:125], v[126:127], s[6:7], v[141:142]
	v_fma_f64 v[52:53], v[52:53], s[20:21], v[84:85]
	;; [unrolled: 1-line block ×4, first 2 shown]
	v_fma_f64 v[126:127], v[126:127], s[16:17], -v[173:174]
	v_fma_f64 v[40:41], v[40:41], s[16:17], -v[175:176]
	v_fma_f64 v[147:148], v[138:139], s[24:25], -v[179:180]
	v_fma_f64 v[141:142], v[167:168], s[18:19], -v[141:142]
	v_fma_f64 v[145:146], v[169:170], s[18:19], -v[165:166]
	v_fma_f64 v[84:85], v[128:129], s[22:23], -v[84:85]
	v_fma_f64 v[68:69], v[102:103], s[20:21], v[108:109]
	v_fma_f64 v[102:103], v[112:113], s[6:7], v[132:133]
	;; [unrolled: 1-line block ×3, first 2 shown]
	v_fma_f64 v[38:39], v[128:129], s[24:25], -v[38:39]
	v_fma_f64 v[90:91], v[90:91], s[10:11], v[26:27]
	v_fma_f64 v[128:129], v[138:139], s[22:23], -v[163:164]
	v_fma_f64 v[42:43], v[42:43], s[10:11], v[30:31]
	v_fma_f64 v[130:131], v[44:45], s[24:25], -v[130:131]
	v_fma_f64 v[112:113], v[112:113], s[16:17], -v[177:178]
	;; [unrolled: 1-line block ×4, first 2 shown]
	v_fma_f64 v[108:109], v[94:95], s[2:3], v[60:61]
	v_fma_f64 v[24:25], v[94:95], s[2:3], v[24:25]
	;; [unrolled: 1-line block ×7, first 2 shown]
	v_add_f64_e32 v[132:133], v[64:65], v[114:115]
	v_add_f64_e32 v[64:65], v[66:67], v[114:115]
	;; [unrolled: 1-line block ×3, first 2 shown]
	v_fma_f64 v[74:75], v[48:49], s[2:3], v[62:63]
	v_add_f64_e32 v[92:93], v[92:93], v[70:71]
	v_add_f64_e32 v[96:97], v[96:97], v[82:83]
	;; [unrolled: 1-line block ×5, first 2 shown]
	v_fma_f64 v[46:47], v[46:47], s[2:3], v[136:137]
	v_add_f64_e32 v[82:83], v[120:121], v[82:83]
	v_fma_f64 v[114:115], v[50:51], s[2:3], v[124:125]
	v_fma_f64 v[120:121], v[58:59], s[2:3], v[134:135]
	;; [unrolled: 1-line block ×7, first 2 shown]
	v_add_f64_e32 v[136:137], v[52:53], v[88:89]
	v_add_f64_e32 v[38:39], v[38:39], v[88:89]
	;; [unrolled: 1-line block ×7, first 2 shown]
	v_fma_f64 v[143:144], v[54:55], s[2:3], v[112:113]
	v_add_f64_e32 v[130:131], v[130:131], v[42:43]
	v_fma_f64 v[145:146], v[54:55], s[2:3], v[78:79]
	v_add_f64_e32 v[42:43], v[44:45], v[42:43]
	v_add_f64_e32 v[40:41], v[108:109], v[132:133]
	;; [unrolled: 1-line block ×3, first 2 shown]
	v_add_f64_e64 v[48:49], v[66:67], -v[60:61]
	v_add_f64_e32 v[52:53], v[60:61], v[66:67]
	v_add_f64_e64 v[56:57], v[64:65], -v[24:25]
	v_add_f64_e32 v[78:79], v[94:95], v[96:97]
	v_add_f64_e32 v[64:65], v[76:77], v[98:99]
	v_add_f64_e64 v[62:63], v[100:101], -v[80:81]
	v_add_f64_e64 v[68:69], v[70:71], -v[74:75]
	v_add_f64_e32 v[72:73], v[74:75], v[70:71]
	v_add_f64_e32 v[74:75], v[80:81], v[100:101]
	v_add_f64_e64 v[80:81], v[92:93], -v[86:87]
	v_add_f64_e32 v[66:67], v[46:47], v[82:83]
	v_add_f64_e64 v[70:71], v[82:83], -v[46:47]
	v_add_f64_e64 v[76:77], v[98:99], -v[76:77]
	v_add_f64_e32 v[60:61], v[86:87], v[92:93]
	v_add_f64_e64 v[58:59], v[96:97], -v[94:95]
	v_lshlrev_b64_e32 v[24:25], 4, v[116:117]
	v_add_f64_e64 v[84:85], v[136:137], -v[114:115]
	v_add_f64_e64 v[88:89], v[38:39], -v[124:125]
	v_add_f64_e32 v[82:83], v[120:121], v[122:123]
	v_add_f64_e32 v[86:87], v[126:127], v[138:139]
	;; [unrolled: 1-line block ×3, first 2 shown]
	v_add_f64_e64 v[90:91], v[128:129], -v[134:135]
	v_add_f64_e64 v[96:97], v[141:142], -v[50:51]
	v_add_f64_e32 v[94:95], v[134:135], v[128:129]
	v_add_f64_e32 v[100:101], v[124:125], v[38:39]
	v_add_f64_e64 v[98:99], v[138:139], -v[126:127]
	v_add_f64_e32 v[114:115], v[114:115], v[136:137]
	v_add_f64_e64 v[112:113], v[122:123], -v[120:121]
	v_add_f64_e64 v[122:123], v[132:133], -v[108:109]
	v_add_f64_e32 v[120:121], v[102:103], v[147:148]
	v_add_f64_e32 v[54:55], v[143:144], v[130:131]
	v_add_f64_e64 v[50:51], v[42:43], -v[145:146]
	v_add_f64_e32 v[46:47], v[145:146], v[42:43]
	v_add_f64_e64 v[42:43], v[130:131], -v[143:144]
	v_add_f64_e64 v[38:39], v[147:148], -v[102:103]
	v_add_co_u32 v108, vcc_lo, s8, v118
	s_wait_alu 0xfffd
	v_add_co_ci_u32_e32 v109, vcc_lo, s9, v119, vcc_lo
	v_lshlrev_b64_e32 v[102:103], 4, v[110:111]
	s_delay_alu instid0(VALU_DEP_3) | instskip(SKIP_1) | instid1(VALU_DEP_3)
	v_add_co_u32 v24, vcc_lo, v108, v24
	s_wait_alu 0xfffd
	v_add_co_ci_u32_e32 v25, vcc_lo, v109, v25, vcc_lo
	s_delay_alu instid0(VALU_DEP_2) | instskip(SKIP_1) | instid1(VALU_DEP_2)
	v_add_co_u32 v102, vcc_lo, v24, v102
	s_wait_alu 0xfffd
	v_add_co_ci_u32_e32 v103, vcc_lo, v25, v103, vcc_lo
	s_clause 0x14
	global_store_b128 v[24:25], v[34:37], off
	global_store_b128 v[24:25], v[26:29], off offset:1008
	global_store_b128 v[24:25], v[78:81], off offset:3456
	;; [unrolled: 1-line block ×20, first 2 shown]
	s_and_b32 exec_lo, exec_lo, s0
	s_cbranch_execz .LBB0_18
; %bb.17:
	v_subrev_nc_u32_e32 v26, 27, v116
	s_delay_alu instid0(VALU_DEP_1) | instskip(NEXT) | instid1(VALU_DEP_1)
	v_cndmask_b32_e64 v26, v26, v140, s0
	v_mul_i32_i24_e32 v110, 6, v26
	s_delay_alu instid0(VALU_DEP_1) | instskip(NEXT) | instid1(VALU_DEP_1)
	v_lshlrev_b64_e32 v[26:27], 4, v[110:111]
	v_add_co_u32 v46, vcc_lo, s4, v26
	s_wait_alu 0xfffd
	s_delay_alu instid0(VALU_DEP_2)
	v_add_co_ci_u32_e32 v47, vcc_lo, s5, v27, vcc_lo
	s_clause 0x5
	global_load_b128 v[26:29], v[46:47], off offset:3424
	global_load_b128 v[30:33], v[46:47], off offset:3440
	;; [unrolled: 1-line block ×6, first 2 shown]
	s_wait_loadcnt 0x5
	v_mul_f64_e32 v[50:51], v[14:15], v[28:29]
	v_mul_f64_e32 v[28:29], v[2:3], v[28:29]
	s_wait_loadcnt 0x4
	v_mul_f64_e32 v[52:53], v[16:17], v[32:33]
	v_mul_f64_e32 v[32:33], v[4:5], v[32:33]
	s_wait_loadcnt 0x3
	v_mul_f64_e32 v[54:55], v[106:107], v[36:37]
	v_mul_f64_e32 v[36:37], v[104:105], v[36:37]
	s_wait_loadcnt 0x2
	v_mul_f64_e32 v[56:57], v[22:23], v[40:41]
	v_mul_f64_e32 v[40:41], v[10:11], v[40:41]
	s_wait_loadcnt 0x1
	v_mul_f64_e32 v[58:59], v[18:19], v[44:45]
	v_mul_f64_e32 v[44:45], v[6:7], v[44:45]
	s_wait_loadcnt 0x0
	v_mul_f64_e32 v[60:61], v[20:21], v[48:49]
	v_mul_f64_e32 v[48:49], v[8:9], v[48:49]
	v_fma_f64 v[2:3], v[2:3], v[26:27], -v[50:51]
	v_fma_f64 v[14:15], v[14:15], v[26:27], v[28:29]
	v_fma_f64 v[4:5], v[4:5], v[30:31], -v[52:53]
	v_fma_f64 v[16:17], v[16:17], v[30:31], v[32:33]
	;; [unrolled: 2-line block ×6, first 2 shown]
	v_add_f64_e32 v[30:31], v[2:3], v[26:27]
	v_add_f64_e32 v[32:33], v[14:15], v[28:29]
	v_add_f64_e32 v[34:35], v[4:5], v[10:11]
	v_add_f64_e32 v[36:37], v[16:17], v[22:23]
	v_add_f64_e64 v[4:5], v[4:5], -v[10:11]
	v_add_f64_e64 v[10:11], v[16:17], -v[22:23]
	v_add_f64_e32 v[16:17], v[6:7], v[8:9]
	v_add_f64_e32 v[22:23], v[18:19], v[20:21]
	v_add_f64_e64 v[6:7], v[8:9], -v[6:7]
	v_add_f64_e64 v[8:9], v[20:21], -v[18:19]
	;; [unrolled: 1-line block ×4, first 2 shown]
	v_add_f64_e32 v[2:3], v[34:35], v[30:31]
	v_add_f64_e32 v[20:21], v[36:37], v[32:33]
	v_add_f64_e64 v[26:27], v[30:31], -v[16:17]
	v_add_f64_e64 v[28:29], v[32:33], -v[22:23]
	;; [unrolled: 1-line block ×6, first 2 shown]
	v_add_f64_e32 v[4:5], v[6:7], v[4:5]
	v_add_f64_e32 v[10:11], v[8:9], v[10:11]
	v_add_f64_e64 v[6:7], v[18:19], -v[6:7]
	v_add_f64_e64 v[8:9], v[14:15], -v[8:9]
	v_add_f64_e32 v[46:47], v[16:17], v[2:3]
	v_add_f64_e32 v[20:21], v[22:23], v[20:21]
	v_add_f64_e64 v[16:17], v[16:17], -v[34:35]
	v_add_f64_e64 v[22:23], v[22:23], -v[36:37]
	v_mul_f64_e32 v[26:27], s[20:21], v[26:27]
	v_mul_f64_e32 v[28:29], s[20:21], v[28:29]
	;; [unrolled: 1-line block ×6, first 2 shown]
	v_add_f64_e32 v[4:5], v[4:5], v[18:19]
	v_add_f64_e32 v[10:11], v[10:11], v[14:15]
	;; [unrolled: 1-line block ×4, first 2 shown]
	v_add_f64_e64 v[12:13], v[34:35], -v[30:31]
	v_add_f64_e64 v[30:31], v[36:37], -v[32:33]
	v_mul_f64_e32 v[32:33], s[14:15], v[16:17]
	v_mul_f64_e32 v[34:35], s[14:15], v[22:23]
	v_fma_f64 v[14:15], v[16:17], s[14:15], v[26:27]
	v_fma_f64 v[16:17], v[22:23], s[14:15], v[28:29]
	;; [unrolled: 1-line block ×4, first 2 shown]
	v_fma_f64 v[36:37], v[42:43], s[18:19], -v[38:39]
	v_fma_f64 v[38:39], v[44:45], s[18:19], -v[40:41]
	v_fma_f64 v[6:7], v[6:7], s[16:17], -v[48:49]
	v_fma_f64 v[8:9], v[8:9], s[16:17], -v[50:51]
	v_fma_f64 v[40:41], v[46:47], s[10:11], v[0:1]
	v_fma_f64 v[20:21], v[20:21], s[10:11], v[2:3]
	v_fma_f64 v[26:27], v[12:13], s[24:25], -v[26:27]
	v_fma_f64 v[28:29], v[30:31], s[24:25], -v[28:29]
	v_fma_f64 v[12:13], v[12:13], s[22:23], -v[32:33]
	v_fma_f64 v[30:31], v[30:31], s[22:23], -v[34:35]
	v_fma_f64 v[32:33], v[4:5], s[2:3], v[18:19]
	v_fma_f64 v[34:35], v[10:11], s[2:3], v[22:23]
	;; [unrolled: 1-line block ×6, first 2 shown]
	v_add_f64_e32 v[42:43], v[14:15], v[40:41]
	v_add_f64_e32 v[44:45], v[16:17], v[20:21]
	;; [unrolled: 1-line block ×7, first 2 shown]
	v_add_f64_e64 v[6:7], v[44:45], -v[32:33]
	v_add_f64_e32 v[8:9], v[38:39], v[26:27]
	v_add_f64_e64 v[10:11], v[28:29], -v[36:37]
	v_add_f64_e64 v[12:13], v[16:17], -v[22:23]
	v_add_f64_e32 v[14:15], v[18:19], v[20:21]
	v_add_f64_e32 v[16:17], v[22:23], v[16:17]
	v_add_f64_e64 v[18:19], v[20:21], -v[18:19]
	v_add_f64_e64 v[20:21], v[26:27], -v[38:39]
	v_add_f64_e32 v[22:23], v[36:37], v[28:29]
	v_add_f64_e64 v[26:27], v[42:43], -v[34:35]
	v_add_f64_e32 v[28:29], v[32:33], v[44:45]
	s_clause 0x6
	global_store_b128 v[24:25], v[0:3], off offset:3024
	global_store_b128 v[24:25], v[4:7], off offset:6480
	;; [unrolled: 1-line block ×7, first 2 shown]
.LBB0_18:
	s_nop 0
	s_sendmsg sendmsg(MSG_DEALLOC_VGPRS)
	s_endpgm
	.section	.rodata,"a",@progbits
	.p2align	6, 0x0
	.amdhsa_kernel fft_rtc_fwd_len1512_factors_2_2_2_3_3_3_7_wgs_63_tpt_63_halfLds_dp_ip_CI_unitstride_sbrr_dirReg
		.amdhsa_group_segment_fixed_size 0
		.amdhsa_private_segment_fixed_size 0
		.amdhsa_kernarg_size 88
		.amdhsa_user_sgpr_count 2
		.amdhsa_user_sgpr_dispatch_ptr 0
		.amdhsa_user_sgpr_queue_ptr 0
		.amdhsa_user_sgpr_kernarg_segment_ptr 1
		.amdhsa_user_sgpr_dispatch_id 0
		.amdhsa_user_sgpr_private_segment_size 0
		.amdhsa_wavefront_size32 1
		.amdhsa_uses_dynamic_stack 0
		.amdhsa_enable_private_segment 0
		.amdhsa_system_sgpr_workgroup_id_x 1
		.amdhsa_system_sgpr_workgroup_id_y 0
		.amdhsa_system_sgpr_workgroup_id_z 0
		.amdhsa_system_sgpr_workgroup_info 0
		.amdhsa_system_vgpr_workitem_id 0
		.amdhsa_next_free_vgpr 221
		.amdhsa_next_free_sgpr 32
		.amdhsa_reserve_vcc 1
		.amdhsa_float_round_mode_32 0
		.amdhsa_float_round_mode_16_64 0
		.amdhsa_float_denorm_mode_32 3
		.amdhsa_float_denorm_mode_16_64 3
		.amdhsa_fp16_overflow 0
		.amdhsa_workgroup_processor_mode 1
		.amdhsa_memory_ordered 1
		.amdhsa_forward_progress 0
		.amdhsa_round_robin_scheduling 0
		.amdhsa_exception_fp_ieee_invalid_op 0
		.amdhsa_exception_fp_denorm_src 0
		.amdhsa_exception_fp_ieee_div_zero 0
		.amdhsa_exception_fp_ieee_overflow 0
		.amdhsa_exception_fp_ieee_underflow 0
		.amdhsa_exception_fp_ieee_inexact 0
		.amdhsa_exception_int_div_zero 0
	.end_amdhsa_kernel
	.text
.Lfunc_end0:
	.size	fft_rtc_fwd_len1512_factors_2_2_2_3_3_3_7_wgs_63_tpt_63_halfLds_dp_ip_CI_unitstride_sbrr_dirReg, .Lfunc_end0-fft_rtc_fwd_len1512_factors_2_2_2_3_3_3_7_wgs_63_tpt_63_halfLds_dp_ip_CI_unitstride_sbrr_dirReg
                                        ; -- End function
	.section	.AMDGPU.csdata,"",@progbits
; Kernel info:
; codeLenInByte = 17188
; NumSgprs: 34
; NumVgprs: 221
; ScratchSize: 0
; MemoryBound: 1
; FloatMode: 240
; IeeeMode: 1
; LDSByteSize: 0 bytes/workgroup (compile time only)
; SGPRBlocks: 4
; VGPRBlocks: 27
; NumSGPRsForWavesPerEU: 34
; NumVGPRsForWavesPerEU: 221
; Occupancy: 6
; WaveLimiterHint : 1
; COMPUTE_PGM_RSRC2:SCRATCH_EN: 0
; COMPUTE_PGM_RSRC2:USER_SGPR: 2
; COMPUTE_PGM_RSRC2:TRAP_HANDLER: 0
; COMPUTE_PGM_RSRC2:TGID_X_EN: 1
; COMPUTE_PGM_RSRC2:TGID_Y_EN: 0
; COMPUTE_PGM_RSRC2:TGID_Z_EN: 0
; COMPUTE_PGM_RSRC2:TIDIG_COMP_CNT: 0
	.text
	.p2alignl 7, 3214868480
	.fill 96, 4, 3214868480
	.type	__hip_cuid_f09455b6d3fec38e,@object ; @__hip_cuid_f09455b6d3fec38e
	.section	.bss,"aw",@nobits
	.globl	__hip_cuid_f09455b6d3fec38e
__hip_cuid_f09455b6d3fec38e:
	.byte	0                               ; 0x0
	.size	__hip_cuid_f09455b6d3fec38e, 1

	.ident	"AMD clang version 19.0.0git (https://github.com/RadeonOpenCompute/llvm-project roc-6.4.0 25133 c7fe45cf4b819c5991fe208aaa96edf142730f1d)"
	.section	".note.GNU-stack","",@progbits
	.addrsig
	.addrsig_sym __hip_cuid_f09455b6d3fec38e
	.amdgpu_metadata
---
amdhsa.kernels:
  - .args:
      - .actual_access:  read_only
        .address_space:  global
        .offset:         0
        .size:           8
        .value_kind:     global_buffer
      - .offset:         8
        .size:           8
        .value_kind:     by_value
      - .actual_access:  read_only
        .address_space:  global
        .offset:         16
        .size:           8
        .value_kind:     global_buffer
      - .actual_access:  read_only
        .address_space:  global
        .offset:         24
        .size:           8
        .value_kind:     global_buffer
      - .offset:         32
        .size:           8
        .value_kind:     by_value
      - .actual_access:  read_only
        .address_space:  global
        .offset:         40
        .size:           8
        .value_kind:     global_buffer
      - .actual_access:  read_only
        .address_space:  global
        .offset:         48
        .size:           8
        .value_kind:     global_buffer
      - .offset:         56
        .size:           4
        .value_kind:     by_value
      - .actual_access:  read_only
        .address_space:  global
        .offset:         64
        .size:           8
        .value_kind:     global_buffer
      - .actual_access:  read_only
        .address_space:  global
        .offset:         72
        .size:           8
        .value_kind:     global_buffer
      - .address_space:  global
        .offset:         80
        .size:           8
        .value_kind:     global_buffer
    .group_segment_fixed_size: 0
    .kernarg_segment_align: 8
    .kernarg_segment_size: 88
    .language:       OpenCL C
    .language_version:
      - 2
      - 0
    .max_flat_workgroup_size: 63
    .name:           fft_rtc_fwd_len1512_factors_2_2_2_3_3_3_7_wgs_63_tpt_63_halfLds_dp_ip_CI_unitstride_sbrr_dirReg
    .private_segment_fixed_size: 0
    .sgpr_count:     34
    .sgpr_spill_count: 0
    .symbol:         fft_rtc_fwd_len1512_factors_2_2_2_3_3_3_7_wgs_63_tpt_63_halfLds_dp_ip_CI_unitstride_sbrr_dirReg.kd
    .uniform_work_group_size: 1
    .uses_dynamic_stack: false
    .vgpr_count:     221
    .vgpr_spill_count: 0
    .wavefront_size: 32
    .workgroup_processor_mode: 1
amdhsa.target:   amdgcn-amd-amdhsa--gfx1201
amdhsa.version:
  - 1
  - 2
...

	.end_amdgpu_metadata
